;; amdgpu-corpus repo=ROCm/Tensile kind=harvested arch=n/a opt=n/a

/******************************************/
/* Function Prefix                        */
/******************************************/



/******************************************/
/* Begin Kernel                           */
/******************************************/

// Component.Signature.SignatureDefault
.amdgcn_target "amdgcn-amd-amdhsa--gfx942"
.text
.protected Cijk_Alik_Bljk_CB_MT256x112x16_MI16x16x4x1_SN_1LDSB1_APM1_AF0EM1_AF1EM1_AMAS3_ASGT_ASLT_ASEM1_BL1_BS1_CLR0_DTVA0_DTVB0_ETB_EPS1_ELFLR0_EMLL0_FSSC10_FL0_GLVWA1_GLVWB1_GRCGA1_GRCGB1_GRVWn1_GSU1_GSUASB_GLS0_IU1_K1_LBSPPA256_LBSPPB128_LPA4_LPB4_LRVW2_MIAV0_MKFGSU256_NTA0_NTB0_NTC4_NTD4_NEPBS4_NLCA1_NLCB1_ONLL1_PK0_PGR2_PLR5_PKA0_SIA3_SS1_SU8_SUM0_SUS256_SPO1_SRVW0_SSO4_SVW2_TSGRA0_TSGRB0_TT4_112_TLDS1_UMLDSA1_UMLDSB1_USFGROn1_VAW1_VSn1_VW2_VWB1_VFLRP0_WSGRA0_WSGRB0_WG64_4_1_WGM12
.globl Cijk_Alik_Bljk_CB_MT256x112x16_MI16x16x4x1_SN_1LDSB1_APM1_AF0EM1_AF1EM1_AMAS3_ASGT_ASLT_ASEM1_BL1_BS1_CLR0_DTVA0_DTVB0_ETB_EPS1_ELFLR0_EMLL0_FSSC10_FL0_GLVWA1_GLVWB1_GRCGA1_GRCGB1_GRVWn1_GSU1_GSUASB_GLS0_IU1_K1_LBSPPA256_LBSPPB128_LPA4_LPB4_LRVW2_MIAV0_MKFGSU256_NTA0_NTB0_NTC4_NTD4_NEPBS4_NLCA1_NLCB1_ONLL1_PK0_PGR2_PLR5_PKA0_SIA3_SS1_SU8_SUM0_SUS256_SPO1_SRVW0_SSO4_SVW2_TSGRA0_TSGRB0_TT4_112_TLDS1_UMLDSA1_UMLDSB1_USFGROn1_VAW1_VSn1_VW2_VWB1_VFLRP0_WSGRA0_WSGRB0_WG64_4_1_WGM12
.p2align 8
.type Cijk_Alik_Bljk_CB_MT256x112x16_MI16x16x4x1_SN_1LDSB1_APM1_AF0EM1_AF1EM1_AMAS3_ASGT_ASLT_ASEM1_BL1_BS1_CLR0_DTVA0_DTVB0_ETB_EPS1_ELFLR0_EMLL0_FSSC10_FL0_GLVWA1_GLVWB1_GRCGA1_GRCGB1_GRVWn1_GSU1_GSUASB_GLS0_IU1_K1_LBSPPA256_LBSPPB128_LPA4_LPB4_LRVW2_MIAV0_MKFGSU256_NTA0_NTB0_NTC4_NTD4_NEPBS4_NLCA1_NLCB1_ONLL1_PK0_PGR2_PLR5_PKA0_SIA3_SS1_SU8_SUM0_SUS256_SPO1_SRVW0_SSO4_SVW2_TSGRA0_TSGRB0_TT4_112_TLDS1_UMLDSA1_UMLDSB1_USFGROn1_VAW1_VSn1_VW2_VWB1_VFLRP0_WSGRA0_WSGRB0_WG64_4_1_WGM12,@function
.section .rodata,#alloc
.p2align 6
.amdhsa_kernel Cijk_Alik_Bljk_CB_MT256x112x16_MI16x16x4x1_SN_1LDSB1_APM1_AF0EM1_AF1EM1_AMAS3_ASGT_ASLT_ASEM1_BL1_BS1_CLR0_DTVA0_DTVB0_ETB_EPS1_ELFLR0_EMLL0_FSSC10_FL0_GLVWA1_GLVWB1_GRCGA1_GRCGB1_GRVWn1_GSU1_GSUASB_GLS0_IU1_K1_LBSPPA256_LBSPPB128_LPA4_LPB4_LRVW2_MIAV0_MKFGSU256_NTA0_NTB0_NTC4_NTD4_NEPBS4_NLCA1_NLCB1_ONLL1_PK0_PGR2_PLR5_PKA0_SIA3_SS1_SU8_SUM0_SUS256_SPO1_SRVW0_SSO4_SVW2_TSGRA0_TSGRB0_TT4_112_TLDS1_UMLDSA1_UMLDSB1_USFGROn1_VAW1_VSn1_VW2_VWB1_VFLRP0_WSGRA0_WSGRB0_WG64_4_1_WGM12
  .amdhsa_user_sgpr_kernarg_segment_ptr 1
  .amdhsa_user_sgpr_kernarg_preload_offset 0
  .amdhsa_user_sgpr_kernarg_preload_length 0
  .amdhsa_user_sgpr_count 2
  .amdhsa_accum_offset 256 // accvgpr offset
  .amdhsa_next_free_vgpr 480 // vgprs
  .amdhsa_next_free_sgpr 86 // sgprs
  .amdhsa_group_segment_fixed_size 54784 // lds bytes
  .amdhsa_private_segment_fixed_size 0
  .amdhsa_system_sgpr_workgroup_id_x 1
  .amdhsa_system_sgpr_workgroup_id_y 1
  .amdhsa_system_sgpr_workgroup_id_z 1
  .amdhsa_system_vgpr_workitem_id 0
  .amdhsa_float_denorm_mode_32 3
  .amdhsa_float_denorm_mode_16_64 3
.end_amdhsa_kernel
.text

/******************************************/
/* Optimizations and Config:              */
/******************************************/
/* ThreadTile= 16 x 7 */
/* SubGroup= 16 x 16 */
/* VectorWidthA=2 */
/* VectorWidthB=1 */
/* GlobalLoadVectorWidthA=1, GlobalLoadVectorWidthB=1 */
/* DirectToLdsA=False */
/* DirectToLdsB=False */
/* UseSgprForGRO=1 */
.amdgpu_metadata
---
amdhsa.version:
  - 1
  - 1
amdhsa.target: amdgcn-amd-amdhsa--gfx942
amdhsa.kernels:
  - .name: Cijk_Alik_Bljk_CB_MT256x112x16_MI16x16x4x1_SN_1LDSB1_APM1_AF0EM1_AF1EM1_AMAS3_ASGT_ASLT_ASEM1_BL1_BS1_CLR0_DTVA0_DTVB0_ETB_EPS1_ELFLR0_EMLL0_FSSC10_FL0_GLVWA1_GLVWB1_GRCGA1_GRCGB1_GRVWn1_GSU1_GSUASB_GLS0_IU1_K1_LBSPPA256_LBSPPB128_LPA4_LPB4_LRVW2_MIAV0_MKFGSU256_NTA0_NTB0_NTC4_NTD4_NEPBS4_NLCA1_NLCB1_ONLL1_PK0_PGR2_PLR5_PKA0_SIA3_SS1_SU8_SUM0_SUS256_SPO1_SRVW0_SSO4_SVW2_TSGRA0_TSGRB0_TT4_112_TLDS1_UMLDSA1_UMLDSB1_USFGROn1_VAW1_VSn1_VW2_VWB1_VFLRP0_WSGRA0_WSGRB0_WG64_4_1_WGM12
    .symbol: 'Cijk_Alik_Bljk_CB_MT256x112x16_MI16x16x4x1_SN_1LDSB1_APM1_AF0EM1_AF1EM1_AMAS3_ASGT_ASLT_ASEM1_BL1_BS1_CLR0_DTVA0_DTVB0_ETB_EPS1_ELFLR0_EMLL0_FSSC10_FL0_GLVWA1_GLVWB1_GRCGA1_GRCGB1_GRVWn1_GSU1_GSUASB_GLS0_IU1_K1_LBSPPA256_LBSPPB128_LPA4_LPB4_LRVW2_MIAV0_MKFGSU256_NTA0_NTB0_NTC4_NTD4_NEPBS4_NLCA1_NLCB1_ONLL1_PK0_PGR2_PLR5_PKA0_SIA3_SS1_SU8_SUM0_SUS256_SPO1_SRVW0_SSO4_SVW2_TSGRA0_TSGRB0_TT4_112_TLDS1_UMLDSA1_UMLDSB1_USFGROn1_VAW1_VSn1_VW2_VWB1_VFLRP0_WSGRA0_WSGRB0_WG64_4_1_WGM12.kd'
    .language:                   OpenCL C
    .language_version:
      - 2
      - 0
    .args:
      - .name:            Tensor2dSizeA
        .size:            8
        .offset:          0
        .value_kind:      by_value
        .value_type:      u64
      - .name:            Tensor2dSizeB
        .size:            8
        .offset:          8
        .value_kind:      by_value
        .value_type:      u64
      - .name:            AddressD
        .size:            8
        .offset:          16
        .value_kind:      by_value
        .value_type:      u64
      - .name:            AddressC
        .size:            8
        .offset:          24
        .value_kind:      by_value
        .value_type:      u64
      - .name:            AddressA
        .size:            8
        .offset:          32
        .value_kind:      by_value
        .value_type:      u64
      - .name:            AddressB
        .size:            8
        .offset:          40
        .value_kind:      by_value
        .value_type:      u64
      - .name:            Alpha
        .size:            8
        .offset:          48
        .value_kind:      by_value
        .value_type:      u64
      - .name:            Beta
        .size:            8
        .offset:          56
        .value_kind:      by_value
        .value_type:      u64
      - .name:            StridesD
        .size:            8
        .offset:          64
        .value_kind:      by_value
        .value_type:      u64
      - .name:            StridesC
        .size:            8
        .offset:          72
        .value_kind:      by_value
        .value_type:      u64
      - .name:            StridesA
        .size:            8
        .offset:          80
        .value_kind:      by_value
        .value_type:      u64
      - .name:            StridesB
        .size:            8
        .offset:          88
        .value_kind:      by_value
        .value_type:      u64
      - .name:            SizesFree
        .size:            12
        .offset:          96
        .value_kind:      by_value
        .value_type:      u96
      - .name:            SizesSum
        .size:            4
        .offset:          108
        .value_kind:      by_value
        .value_type:      u32
      - .name:            OrigStaggerUIter
        .size:            4
        .offset:          112
        .value_kind:      by_value
        .value_type:      u32
      - .name:            NumWorkGroups0
        .size:            4
        .offset:          116
        .value_kind:      by_value
        .value_type:      u32
      - .name:            NumWorkGroups1
        .size:            4
        .offset:          120
        .value_kind:      by_value
        .value_type:      u32
      - .name:            NumFullBlocks
        .size:            4
        .offset:          124
        .value_kind:      by_value
        .value_type:      u32
      - .name:            WgmRemainder1
        .size:            4
        .offset:          128
        .value_kind:      by_value
        .value_type:      u32
      - .name:            MagicNumberWgmRemainder1
        .size:            4
        .offset:          132
        .value_kind:      by_value
        .value_type:      u32
    .group_segment_fixed_size:   54784
    .kernarg_segment_align:      8
    .kernarg_segment_size:       136
    .max_flat_workgroup_size:    256
    .private_segment_fixed_size: 0
    .sgpr_count:                 86
    .sgpr_spill_count:           0
    .vgpr_count:                 256
    .vgpr_spill_count:           0
    .wavefront_size:             64
...
.end_amdgpu_metadata
Cijk_Alik_Bljk_CB_MT256x112x16_MI16x16x4x1_SN_1LDSB1_APM1_AF0EM1_AF1EM1_AMAS3_ASGT_ASLT_ASEM1_BL1_BS1_CLR0_DTVA0_DTVB0_ETB_EPS1_ELFLR0_EMLL0_FSSC10_FL0_GLVWA1_GLVWB1_GRCGA1_GRCGB1_GRVWn1_GSU1_GSUASB_GLS0_IU1_K1_LBSPPA256_LBSPPB128_LPA4_LPB4_LRVW2_MIAV0_MKFGSU256_NTA0_NTB0_NTC4_NTD4_NEPBS4_NLCA1_NLCB1_ONLL1_PK0_PGR2_PLR5_PKA0_SIA3_SS1_SU8_SUM0_SUS256_SPO1_SRVW0_SSO4_SVW2_TSGRA0_TSGRB0_TT4_112_TLDS1_UMLDSA1_UMLDSB1_USFGROn1_VAW1_VSn1_VW2_VWB1_VFLRP0_WSGRA0_WSGRB0_WG64_4_1_WGM12:

/******************************************/
/* Asm syntax workarounds                 */
/******************************************/
.macro _v_add_co_u32 dst:req, cc:req, src0:req, src1:req, dpp=
   v_add_co_u32 \dst, \cc, \src0, \src1 \dpp
.endm

.macro _v_add_u32 dst:req, src0:req, src1:req, dpp=
   v_add_u32 \dst, \src0, \src1 \dpp
.endm

.macro _v_add_i32 dst:req, src0:req, src1:req, dpp=
   v_add_i32 \dst, \src0, \src1 \dpp
.endm

.macro _v_addc_co_u32 dst:req, ccOut:req, src0:req, ccIn:req, src1:req, dpp=
   v_addc_co_u32 \dst, \ccOut, \src0, \ccIn, \src1 \dpp
.endm

.macro _v_sub_co_u32 dst:req, cc:req, src0:req, src1:req, dpp=
   v_sub_co_u32 \dst, \cc, \src0, \src1 \dpp
.endm

.macro _v_sub_u32 dst:req, src0:req, src1:req, dpp=
   v_sub_u32 \dst, \src0, \src1 \dpp
.endm

.macro _v_sub_i32 dst:req, src0:req, src1:req, dpp=
   v_sub_i32 \dst, \src0, \src1 \dpp
.endm

.macro _v_add_lshl_u32 dst:req, src0:req, src1:req, shiftCnt:req
    v_add_lshl_u32 \dst, \src0, \src1, \shiftCnt
.endm

.macro _v_lshl_add_u32 dst:req, src0:req, src1:req, shiftCnt:req
    v_lshl_add_u32 \dst, \src0, \src1, \shiftCnt
.endm

.macro _v_lshl_or_b32 dst:req, src0:req, shiftCnt:req, src1:req
    v_lshl_or_b32 \dst, \src0, \shiftCnt, \src1
.endm

.macro _v_dot2acc_f32_f16 dst, src0, src1
v_dot2c_f32_f16 \dst, \src0, \src1
.endm

.macro _v_cmpx_lt_i16 dst, src0, src1=
   v_cmpx_lt_i16 \dst, \src0, \src1 
.endm

.macro _v_cmpx_lt_i32 dst, src0, src1=
   v_cmpx_lt_i32 \dst, \src0, \src1 
.endm

.macro _v_cmpx_lt_i64 dst, src0, src1=
   v_cmpx_lt_i64 \dst, \src0, \src1 
.endm

.macro _v_cmpx_lt_u16 dst, src0, src1=
   v_cmpx_lt_u16 \dst, \src0, \src1 
.endm

.macro _v_cmpx_lt_u32 dst, src0, src1=
   v_cmpx_lt_u32 \dst, \src0, \src1 
.endm

.macro _v_cmpx_lt_u64 dst, src0, src1=
   v_cmpx_lt_u64 \dst, \src0, \src1 
.endm

.macro _v_cmpx_eq_i16 dst, src0, src1=
   v_cmpx_eq_i16 \dst, \src0, \src1 
.endm

.macro _v_cmpx_eq_i32 dst, src0, src1=
   v_cmpx_eq_i32 \dst, \src0, \src1 
.endm

.macro _v_cmpx_eq_i64 dst, src0, src1=
   v_cmpx_eq_i64 \dst, \src0, \src1 
.endm

.macro _v_cmpx_eq_u16 dst, src0, src1=
   v_cmpx_eq_u16 \dst, \src0, \src1 
.endm

.macro _v_cmpx_eq_u32 dst, src0, src1=
   v_cmpx_eq_u32 \dst, \src0, \src1 
.endm

.macro _v_cmpx_eq_u64 dst, src0, src1=
   v_cmpx_eq_u64 \dst, \src0, \src1 
.endm

.macro _v_cmpx_le_i16 dst, src0, src1=
   v_cmpx_le_i16 \dst, \src0, \src1 
.endm

.macro _v_cmpx_le_i32 dst, src0, src1=
   v_cmpx_le_i32 \dst, \src0, \src1 
.endm

.macro _v_cmpx_le_i64 dst, src0, src1=
   v_cmpx_le_i64 \dst, \src0, \src1 
.endm

.macro _v_cmpx_le_u16 dst, src0, src1=
   v_cmpx_le_u16 \dst, \src0, \src1 
.endm

.macro _v_cmpx_le_u32 dst, src0, src1=
   v_cmpx_le_u32 \dst, \src0, \src1 
.endm

.macro _v_cmpx_le_u64 dst, src0, src1=
   v_cmpx_le_u64 \dst, \src0, \src1 
.endm

.macro _v_cmpx_gt_i16 dst, src0, src1=
   v_cmpx_gt_i16 \dst, \src0, \src1 
.endm

.macro _v_cmpx_gt_i32 dst, src0, src1=
   v_cmpx_gt_i32 \dst, \src0, \src1 
.endm

.macro _v_cmpx_gt_i64 dst, src0, src1=
   v_cmpx_gt_i64 \dst, \src0, \src1 
.endm

.macro _v_cmpx_gt_u16 dst, src0, src1=
   v_cmpx_gt_u16 \dst, \src0, \src1 
.endm

.macro _v_cmpx_gt_u32 dst, src0, src1=
   v_cmpx_gt_u32 \dst, \src0, \src1 
.endm

.macro _v_cmpx_gt_u64 dst, src0, src1=
   v_cmpx_gt_u64 \dst, \src0, \src1 
.endm

.macro _v_cmpx_ne_i16 dst, src0, src1=
   v_cmpx_ne_i16 \dst, \src0, \src1 
.endm

.macro _v_cmpx_ne_i32 dst, src0, src1=
   v_cmpx_ne_i32 \dst, \src0, \src1 
.endm

.macro _v_cmpx_ne_i64 dst, src0, src1=
   v_cmpx_ne_i64 \dst, \src0, \src1 
.endm

.macro _v_cmpx_ne_u16 dst, src0, src1=
   v_cmpx_ne_u16 \dst, \src0, \src1 
.endm

.macro _v_cmpx_ne_u32 dst, src0, src1=
   v_cmpx_ne_u32 \dst, \src0, \src1 
.endm

.macro _v_cmpx_ne_u64 dst, src0, src1=
   v_cmpx_ne_u64 \dst, \src0, \src1 
.endm

.macro _v_cmpx_lg_i16 dst, src0, src1=
   v_cmpx_lg_i16 \dst, \src0, \src1 
.endm

.macro _v_cmpx_lg_i32 dst, src0, src1=
   v_cmpx_lg_i32 \dst, \src0, \src1 
.endm

.macro _v_cmpx_lg_i64 dst, src0, src1=
   v_cmpx_lg_i64 \dst, \src0, \src1 
.endm

.macro _v_cmpx_lg_u16 dst, src0, src1=
   v_cmpx_lg_u16 \dst, \src0, \src1 
.endm

.macro _v_cmpx_lg_u32 dst, src0, src1=
   v_cmpx_lg_u32 \dst, \src0, \src1 
.endm

.macro _v_cmpx_lg_u64 dst, src0, src1=
   v_cmpx_lg_u64 \dst, \src0, \src1 
.endm

.macro _v_cmpx_ge_i16 dst, src0, src1=
   v_cmpx_ge_i16 \dst, \src0, \src1 
.endm

.macro _v_cmpx_ge_i32 dst, src0, src1=
   v_cmpx_ge_i32 \dst, \src0, \src1 
.endm

.macro _v_cmpx_ge_i64 dst, src0, src1=
   v_cmpx_ge_i64 \dst, \src0, \src1 
.endm

.macro _v_cmpx_ge_u16 dst, src0, src1=
   v_cmpx_ge_u16 \dst, \src0, \src1 
.endm

.macro _v_cmpx_ge_u32 dst, src0, src1=
   v_cmpx_ge_u32 \dst, \src0, \src1 
.endm

.macro _v_cmpx_ge_u64 dst, src0, src1=
   v_cmpx_ge_u64 \dst, \src0, \src1 
.endm

.macro _v_cmpx_o_i16 dst, src0, src1=
   v_cmpx_o_i16 \dst, \src0, \src1 
.endm

.macro _v_cmpx_o_i32 dst, src0, src1=
   v_cmpx_o_i32 \dst, \src0, \src1 
.endm

.macro _v_cmpx_o_i64 dst, src0, src1=
   v_cmpx_o_i64 \dst, \src0, \src1 
.endm

.macro _v_cmpx_o_u16 dst, src0, src1=
   v_cmpx_o_u16 \dst, \src0, \src1 
.endm

.macro _v_cmpx_o_u32 dst, src0, src1=
   v_cmpx_o_u32 \dst, \src0, \src1 
.endm

.macro _v_cmpx_o_u64 dst, src0, src1=
   v_cmpx_o_u64 \dst, \src0, \src1 
.endm

.macro _v_cmpx_u_i16 dst, src0, src1=
   v_cmpx_u_i16 \dst, \src0, \src1 
.endm

.macro _v_cmpx_u_i32 dst, src0, src1=
   v_cmpx_u_i32 \dst, \src0, \src1 
.endm

.macro _v_cmpx_u_i64 dst, src0, src1=
   v_cmpx_u_i64 \dst, \src0, \src1 
.endm

.macro _v_cmpx_u_u16 dst, src0, src1=
   v_cmpx_u_u16 \dst, \src0, \src1 
.endm

.macro _v_cmpx_u_u32 dst, src0, src1=
   v_cmpx_u_u32 \dst, \src0, \src1 
.endm

.macro _v_cmpx_u_u64 dst, src0, src1=
   v_cmpx_u_u64 \dst, \src0, \src1 
.endm
.macro _v_mac_f32 c:req, a:req, b:req
    v_fmac_f32 \c, \a, \b
.endmacro

/* scale global load macros */
.macro _s_load_b32 dst base offset
    s_load_dword \dst \base \offset
.endm

.macro _s_load_b64 dst base offset
    s_load_dwordx2 \dst \base \offset
.endm

.macro _s_load_b128 dst base offset
    s_load_dwordx4 \dst \base \offset
.endm

.macro _s_load_b256 dst base offset
    s_load_dwordx8 \dst \base \offset
.endm

.macro _s_load_b512 dst base offset
    s_load_dwordx16 \dst \base \offset
.endm


/* ds operation macros */
.macro _ds_load_u8 dst src offset
    ds_read_u8 \dst \src \offset
.endm

.macro _ds_load_u8_d16_hi dst src offset
    ds_read_u8_d16_hi \dst \src \offset
.endm

.macro _ds_load_u16 dst src offset
    ds_read_u16 \dst \src \offset
.endm

.macro _ds_load_u16_d16_hi dst src offset
    ds_read_u16_d16_hi \dst \src \offset
.endm

.macro _ds_load_b32 dst src offset
    ds_read_b32 \dst \src \offset
.endm

.macro _ds_load_b64 dst src offset
    ds_read_b64 \dst \src \offset
.endm

.macro _ds_load_b128 dst src offset
    ds_read_b128 \dst \src \offset
.endm

.macro _ds_store_b8 dst src offset
    ds_write_b8 \dst \src \offset
.endm

.macro _ds_store_b8_d16_hi dst src offset
    ds_write_b8_d16_hi \dst \src \offset
.endm

.macro _ds_store_b16 dst src offset
    ds_write_b16 \dst \src \offset
.endm

.macro _ds_store_b16_d16_hi dst src offset
    ds_write_b16_d16_hi \dst \src \offset
.endm

.macro _ds_store_b32 dst src offset
    ds_write_b32 \dst \src \offset
.endm

.macro _ds_store_b64 dst src offset
    ds_write_b64 \dst \src \offset
.endm

.macro _ds_store_b128 dst src offset
    ds_write_b128 \dst \src \offset
.endm

.macro _ds_load2_b32 dst src offset1 offset2
    ds_read2_b32 \dst \src \offset1 \offset2
.endm

.macro _ds_load2_b64 dst src offset1 offset2
    ds_read2_b64 \dst \src \offset1 \offset2
.endm

.macro _ds_store2_b32 dst src offset1 offset2
    ds_write2_b32 \dst \src \offset1 \offset2
.endm

.macro _ds_store2_b64 dst src offset1 offset2
    ds_write2_b64 \dst \src \offset1 \offset2
.endm


/* buffer memory operation macros */
.macro _buffer_load_b32 dst voffset base soffset offen ioffset md0 md1 md2
    buffer_load_dword \dst \voffset \base \soffset \offen \ioffset \md0 \md1 \md2
.endm

.macro _buffer_load_b64 dst voffset base soffset offen ioffset md0 md1 md2
    buffer_load_dwordx2 \dst \voffset \base \soffset \offen \ioffset \md0 \md1 \md2
.endm

.macro _buffer_load_b96 dst voffset base soffset offen ioffset md0 md1 md2
    buffer_load_dwordx3 \dst \voffset \base \soffset \offen \ioffset \md0 \md1 \md2
.endm

.macro _buffer_load_b128 dst voffset base soffset offen ioffset md0 md1 md2
    buffer_load_dwordx4 \dst \voffset \base \soffset \offen \ioffset \md0 \md1 \md2
.endm

.macro _buffer_load_d16_b16 dst voffset base soffset offen ioffset md0 md1 md2
    buffer_load_short_d16 \dst \voffset \base \soffset \offen \ioffset \md0 \md1 \md2
.endm

.macro _buffer_load_d16_hi_b16 dst voffset base soffset offen ioffset md0 md1 md2
    buffer_load_short_d16_hi \dst \voffset \base \soffset \offen \ioffset \md0 \md1 \md2
.endm

.macro _buffer_load_d16_u8 dst voffset base soffset offen ioffset md0 md1 md2
    buffer_load_ubyte_d16 \dst \voffset \base \soffset \offen \ioffset \md0 \md1 \md2
.endm

.macro _buffer_load_d16_hi_u8 dst voffset base soffset offen ioffset md0 md1 md2
    buffer_load_ubyte_d16_hi \dst \voffset \base \soffset \offen \ioffset \md0 \md1 \md2
.endm

.macro _buffer_load_u16 dst voffset base soffset offen ioffset md0 md1 md2
    buffer_load_ushort \dst \voffset \base \soffset \offen \ioffset \md0 \md1 \md2
.endm

.macro _buffer_load_b32_dtl voffset base soffset offen ioffset md0 md1 md2
    buffer_load_dword \voffset \base \soffset \offen \ioffset \md0 \md1 \md2
.endm

.macro _buffer_load_b64_dtl voffset base soffset offen ioffset md0 md1 md2
    buffer_load_dwordx2 \voffset \base \soffset \offen \ioffset \md0 \md1 \md2
.endm

.macro _buffer_load_b128_dtl voffset base soffset offen ioffset md0 md1 md2
    buffer_load_dwordx4 \voffset \base \soffset \offen \ioffset \md0 \md1 \md2
.endm

.macro _buffer_load_u16_dtl voffset base soffset offen ioffset md0 md1 md2
    buffer_load_ushort \voffset \base \soffset \offen \ioffset \md0 \md1 \md2
.endm

.macro _buffer_store_b32 src voffset base soffset offen ioffset md0 md1 md2
    buffer_store_dword \src \voffset \base \soffset \offen \ioffset \md0 \md1 \md2
.endm

.macro _buffer_store_b64 src voffset base soffset offen ioffset md0 md1 md2
    buffer_store_dwordx2 \src \voffset \base \soffset \offen \ioffset \md0 \md1 \md2
.endm

.macro _buffer_store_b96 src voffset base soffset offen ioffset md0 md1 md2
    buffer_store_dwordx3 \src \voffset \base \soffset \offen \ioffset \md0 \md1 \md2
.endm

.macro _buffer_store_b128 src voffset base soffset offen ioffset md0 md1 md2
    buffer_store_dwordx4 \src \voffset \base \soffset \offen \ioffset \md0 \md1 \md2
.endm

.macro _buffer_store_b16 src voffset base soffset offen ioffset md0 md1 md2
    buffer_store_short \src \voffset \base \soffset \offen \ioffset \md0 \md1 \md2
.endm

.macro _buffer_store_d16_hi_b16 src voffset base soffset offen ioffset md0 md1 md2
    buffer_store_short_d16_hi \src \voffset \base \soffset \offen \ioffset \md0 \md1 \md2
.endm

.macro _buffer_store_b8 src voffset base soffset offen ioffset md0 md1 md2
    buffer_store_byte \src \voffset \base \soffset \offen \ioffset \md0 \md1 \md2
.endm

.macro _buffer_store_d16_hi_b8 src voffset base soffset offen ioffset md0 md1 md2
    buffer_store_byte_d16_hi \src \voffset \base \soffset \offen \ioffset \md0 \md1 \md2
.endm

.macro _buffer_atomic_cmpswap_b32 dst voffset base soffset offen ioffset md0 md1 md2
    buffer_atomic_cmpswap \dst \voffset \base \soffset \offen \ioffset \md0 \md1 \md2
.endm

.macro _buffer_atomic_cmpswap_b64 dst voffset base soffset offen ioffset md0 md1 md2
    buffer_atomic_cmpswap_x2 \dst \voffset \base \soffset \offen \ioffset \md0 \md1 \md2
.endm


/* buffer memory operation macros */
.macro _global_load_b32 dst base src ioffset md0 md1 md2
    global_load_dword \dst \base \src \ioffset \md0 \md1 \md2
.endm

.macro _global_load_b64 dst base src ioffset md0 md1 md2
    global_load_dwordx2 \dst \base \src \ioffset \md0 \md1 \md2
.endm

.macro _global_load_b96 dst base src ioffset md0 md1 md2
    global_load_dwordx3 \dst \base \src \ioffset \md0 \md1 \md2
.endm

.macro _global_load_b128 dst base src ioffset md0 md1 md2
    global_load_dwordx4 \dst \base \src \ioffset \md0 \md1 \md2
.endm

.macro _global_load_d16_b16 dst base src ioffset md0 md1 md2
    global_load_short_d16 \dst \base \src \ioffset \md0 \md1 \md2
.endm

.macro _global_load_d16_hi_b16 dst base src ioffset md0 md1 md2
    global_load_short_d16_hi \dst \base \src \ioffset \md0 \md1 \md2
.endm

.macro _global_load_d16_u8 dst base src ioffset md0 md1 md2
    global_load_ubyte_d16 \dst \base \src \ioffset \md0 \md1 \md2
.endm

.macro _global_load_d16_hi_u8 dst base src ioffset md0 md1 md2
    global_load_ubyte_d16_hi \dst \base \src \ioffset \md0 \md1 \md2
.endm

.macro _global_load_u16 dst base src ioffset md0 md1 md2
    global_load_ushort \dst \base \src \ioffset \md0 \md1 \md2
.endm

.macro _global_store_b32 base src src2 md0 md1 md2
    global_store_dword \base \src \src2 \md0 \md1 \md2
.endm

.macro _global_store_b64 base src src2 md0 md1 md2
    global_store_dwordx2 \base \src \src2 \md0 \md1 \md2
.endm

.macro _global_store_b96 base src src2 md0 md1 md2
    global_store_dwordx3 \base \src \src2 \md0 \md1 \md2
.endm

.macro _global_store_b128 base src src2 md0 md1 md2
    global_store_dwordx4 \base \src \src2 \md0 \md1 \md2
.endm

.macro _global_store_d16_b16 base src src2 md0 md1 md2
    global_store_short \base \src \src2 \md0 \md1 \md2
.endm

.macro _global_store_d16_hi_b16 base src src2 md0 md1 md2
    global_store_short_d16_hi \base \src \src2 \md0 \md1 \md2
.endm

.macro _global_store_d16_u8 base src src2 md0 md1 md2
    global_store_ubyte_d16 \base \src \src2 \md0 \md1 \md2
.endm

.macro _global_store_d16_hi_u8 base src src2 md0 md1 md2
    global_store_ubyte_d16_hi \base \src \src2 \md0 \md1 \md2
.endm

.macro _global_store_u16 base src src2 md0 md1 md2
    global_store_ushort \base \src \src2 \md0 \md1 \md2
.endm

.macro _global_atomic_cmpswap_b32 tmp base data src ioffset md
    global_atomic_cmpswap \tmp \base \data \src \ioffset \md
.endm

.macro _global_atomic_cmpswap_b64 tmp base data src ioffset md
    global_atomic_cmpswap_x2 \tmp \base \data \src \ioffset \md
.endm


/******************************************/
/* Magic div and mod functions            */
/******************************************/
.macro V_MAGIC_DIV dstIdx:req, dividend:req, magicNumber:req, magicShift:req, magicA:req
    v_mul_hi_u32 v[\dstIdx+1], \dividend, \magicNumber
    v_mul_lo_u32 v[\dstIdx+0], \dividend, \magicA
    _v_add_u32 v[\dstIdx+0], v[\dstIdx+0], v[\dstIdx+1]
    v_lshrrev_b32 v[\dstIdx+0], \magicShift, v[\dstIdx+0]
.endm

/******************************************/
/* VGPR Assignments                       */
/******************************************/
/* ValuC range: [0-0), serializedStore enabled */
.set vgprValuC, 0
/* ValuA/B   Xn=PLR buffer idx,  In=InnerUnroll idx */
.set vgprValuA_X0_I0, 0
.set vgprValuA_X1_I0, 8
.set vgprValuA_X2_I0, 16
.set vgprValuA_X3_I0, 24
.set vgprG2LA, 92
.set vgprValuB_X0_I0, 32
.set vgprValuB_X1_I0, 46
.set vgprValuB_X2_I0, 60
.set vgprValuB_X3_I0, 74
.set vgprG2LB, 124
.set vgprLocalWriteAddrA, 88
.set vgprLocalWriteAddrB, 89
.set vgprGlobalReadOffsetA, 90
.set vgprGlobalReadOffsetB, 91
.set vgprLocalReadAddrA, 138
.set vgprLocalReadAddrB, 139
.set vgprSerial, 140
/* Num VGPR=256 */
/* Num AccVGPR=224 */

/******************************************/
/* SGPR Assignments                       */
/******************************************/
.set sgprKernArgAddress, 0 // (2)
.set sgprWorkGroup0, 2 // (1)
.set sgprWorkGroup1, 3 // (1)
.set sgprWorkGroup2, 4 // (1)
.set sgprLoopCounterL, 5 // (1)
.set sgprOrigLoopCounter, 6 // (1)
.set sgprSrdA, 8 // (4)
.set sgprSrdB, 12 // (4)
.set sgprSrdD, 16 // (4)
.set sgprSrdC, 20 // (4)
.set sgprTensor2dSizeA, 24 // (2)
.set sgprTensor2dSizeB, 26 // (2)
.set sgprAddressD, 28 // (2)
.set sgprAddressC, 30 // (2)
.set sgprAddressA, 32 // (2)
.set sgprAddressB, 34 // (2)
.set sgprAlpha, 36 // (2)
.set sgprBeta, 38 // (2)
.set sgprStridesD, 40 // (2)
.set sgprStridesC, 42 // (2)
.set sgprStridesA, 44 // (2)
.set sgprStridesB, 46 // (2)
.set sgprSizesFree, 48 // (3)
.set sgprSizesSum, 51 // (1)
.set sgprOrigStaggerUIter, 52 // (1)
.set sgprNumWorkGroups0, 53 // (1)
.set sgprNumWorkGroups1, 54 // (1)
.set sgprNumFullBlocks, 55 // (1)
.set sgprWgmRemainder1, 56 // (1)
.set sgprMagicNumberWgmRemainder1, 57 // (1)
.set sgprShadowLimitA, 0 // (2)
.set sgprShadowLimitB, 28 // (2)
.set sgprStaggerUIter, 7 // (1)
.set sgprWrapUA, 30 // (2)
.set sgprWrapUB, 32 // (2)
.set sgprGlobalReadIncsA, 34 // (1)
.set sgprGlobalReadIncsB, 35 // (1)
.set sgprScalarGlobalReadOffsetA, 60 // (15)
.set sgprScalarGlobalReadOffsetB, 75 // (6)
/* max SGPR=86 */

/* Size Assignments */
.set sgprSizeI, sgprSizesFree+0
.set sgprSizeJ, sgprSizesFree+1
.set sgprSizeK, sgprSizesFree+2
.set sgprSizeL, sgprSizesSum+0

/* Stride Assignments */
.set constStrideD0I, 1
.set sgprStrideD1J, sgprStridesD+0
.set sgprStrideDK, sgprStridesD+1
.set constStrideC0I, 1
.set sgprStrideC1J, sgprStridesC+0
.set sgprStrideCK, sgprStridesC+1
.set constStrideAL, 1
.set sgprStrideA0I, sgprStridesA+0
.set sgprStrideAK, sgprStridesA+1
.set constStrideBL, 1
.set sgprStrideB1J, sgprStridesB+0
.set sgprStrideBK, sgprStridesB+1

.set MT0, 256
.set MT1, 112
.set DepthU, 16
.set GSU, 1
.set BpeA, 8
.set BpeALog2, 3
.set BpeB, 8
.set BpeBLog2, 3
/* Number of elements to shift-left SRD */
.set SrdShiftLeftA, 1
.set SrdShiftLeftB, 1
/* 2GB limit - set offsets to -1 to exceed this and clamp */
.set BufferLimitA, 0xffffffff
.set BufferLimitB, 0xffffffff
.set BufferOOB, 0xfffff000

/******************************************/
/* Bits 127:96 of SRD.                    */
/* hex: 0x00020000                        */
/* dst_sel_x (3b): 0                      */
/* dst_sel_y (3b): 0                      */
/* dst_sel_z (3b): 0                      */
/* dst_sel_w (3b): 0                      */
/* num_format (3b): 0                     */
/* data_format (4b): 4                    */
/* user_vm_enable (1b): 0                 */
/* user_vm_mode (1b): 0                   */
/* index_stride (2b): 0                   */
/* add_tid_enable (1b): 0                 */
/* _unusedA (3b): 0                       */
/* nv (1b): 0                             */
/* _unusedB (2b): 0                       */
/* type (2b): 0                           */
/******************************************/
.set Srd127_96, 0x00020000

/* Global Offset A */
.macro GLOBAL_OFFSET_A vgprAddr:req vgprOffsetL:req vgprOffset0I:req vgprTmp:req
v_mul_lo_u32 v[\vgprTmp+0], s[sgprStrideA0I], v[\vgprOffset0I] // mul d1 lower
_v_add_co_u32 v[\vgprAddr+0], vcc, v[\vgprOffsetL], v[\vgprTmp+0] // accumulate K lower
_v_add_u32 v[\vgprAddr+0], 0x1, v[\vgprAddr+0]     // add prepad for pointer shift
v_lshlrev_b32 v[\vgprAddr+0], 0x3, v[\vgprAddr+0]  // offset *= bytes/element
.endm

/* Global Offset B */
.macro GLOBAL_OFFSET_B vgprAddr:req vgprOffsetL:req vgprOffset1J:req vgprTmp:req
v_mul_lo_u32 v[\vgprTmp+0], s[sgprStrideB1J], v[\vgprOffset1J] // mul d1 lower
_v_add_co_u32 v[\vgprAddr+0], vcc, v[\vgprOffsetL], v[\vgprTmp+0] // accumulate K lower
_v_add_u32 v[\vgprAddr+0], 0x1, v[\vgprAddr+0]     // add prepad for pointer shift
v_lshlrev_b32 v[\vgprAddr+0], 0x3, v[\vgprAddr+0]  // offset *= bytes/element
.endm

/******************************************/
/* Dynamic Scalar Divide: vQuotient=vDividend/vDivisor; vRemainder=vDividend%vDivisor; */
/******************************************/
.macro DYNAMIC_VECTOR_DIVIDE vQuotient vRemainder vDividend vDivisor vTmp0 vTmp1 sTmp
v_cvt_f32_u32 v[\vQuotient], v[\vDivisor]          // 
v_rcp_f32 v[\vQuotient], v[\vQuotient]             // 
v_mul_f32 v[\vQuotient], 0x4f800000, v[\vQuotient] // 
v_cvt_u32_f32 v[\vQuotient], v[\vQuotient]         // 
v_mul_lo_u32 v[\vRemainder], v[\vDivisor], v[\vQuotient] // 
v_mul_hi_u32 v[\vTmp0], v[\vDivisor], v[\vQuotient] // 
_v_sub_co_u32 v[\vTmp1], vcc, 0x0, v[\vRemainder]  // 
v_cmp_ne_i32 s[\sTmp:\sTmp+1], 0x0, v[\vTmp0]      // 
v_cndmask_b32 v[\vRemainder], v[\vTmp1], v[\vRemainder], s[\sTmp:\sTmp+1] // 
v_mul_hi_u32 v[\vRemainder], v[\vRemainder], v[\vQuotient] // 
_v_sub_co_u32 v[\vTmp0], vcc, v[\vQuotient], v[\vRemainder] // 
_v_add_co_u32 v[\vQuotient], vcc, v[\vQuotient], v[\vRemainder] // 
v_cndmask_b32 v[\vQuotient], v[\vQuotient], v[\vTmp0], s[\sTmp:\sTmp+1] // 
v_mul_hi_u32 v[\vQuotient], v[\vQuotient], v[\vDividend] // 
v_mul_lo_u32 v[\vRemainder], v[\vQuotient], v[\vDivisor] // 
_v_sub_co_u32 v[\vTmp0], vcc, v[\vDividend], v[\vRemainder] // 
v_cmp_ge_u32 s[\sTmp:\sTmp+1], v[\vDividend], v[\vRemainder] // 
_v_add_co_u32 v[\vRemainder], vcc, 0x1, v[\vQuotient] // 
_v_add_co_u32 v[\vTmp1], vcc, -1, v[\vQuotient]    // 
v_cmp_le_u32 vcc, v[\vDivisor], v[\vTmp0]          // 
s_and_b64 vcc, s[\sTmp:\sTmp+1], vcc               // 
v_cndmask_b32 v[\vQuotient], v[\vQuotient], v[\vRemainder], vcc // 
v_cndmask_b32 v[\vQuotient], v[\vTmp1], v[\vQuotient], s[\sTmp:\sTmp+1] // 
v_cmp_ne_i32 vcc, 0x0, v[\vDivisor]                // 
v_cndmask_b32 v[\vQuotient], -1, v[\vQuotient], vcc // final result
v_mul_lo_u32 v[\vRemainder], v[\vQuotient], v[\vDivisor] // 
_v_sub_co_u32 v[\vRemainder], vcc, v[\vDividend], v[\vRemainder] // final result
.endm



/******************************************/
/* Allocate Resources                     */
/******************************************/

Cijk_Alik_Bljk_CB_MT256x112x16_MI16x16x4x1_SN_1LDSB1_APM1_AF0EM1_AF1EM1_AMAS3_ASGT_ASLT_ASEM1_BL1_BS1_CLR0_DTVA0_DTVB0_ETB_EPS1_ELFLR0_EMLL0_FSSC10_FL0_GLVWA1_GLVWB1_GRCGA1_GRCGB1_GRVWn1_GSU1_GSUASB_GLS0_IU1_K1_LBSPPA256_LBSPPB128_LPA4_LPB4_LRVW2_MIAV0_MKFGSU256_NTA0_NTB0_NTC4_NTD4_NEPBS4_NLCA1_NLCB1_ONLL1_PK0_PGR2_PLR5_PKA0_SIA3_SS1_SU8_SUM0_SUS256_SPO1_SRVW0_SSO4_SVW2_TSGRA0_TSGRB0_TT4_112_TLDS1_UMLDSA1_UMLDSB1_USFGROn1_VAW1_VSn1_VW2_VWB1_VFLRP0_WSGRA0_WSGRB0_WG64_4_1_WGM12_preloaded: // Kernel start when preloading
s_setprio 3                                        // optimization store

/* Load Kernel Args */
_s_load_b512 s[24:39], s[sgprKernArgAddress:sgprKernArgAddress+1], 0x0 // 
_s_load_b512 s[40:55], s[sgprKernArgAddress:sgprKernArgAddress+1], 0x40 // 
_s_load_b64 s[56:57], s[sgprKernArgAddress:sgprKernArgAddress+1], 0x80 // 
s_mov_b32 m0, 0xd600                               // LDS clamp at 54784 bytes
v_mov_b32 v[vgprSerial], v0                        // thread serial id

/******************************************/
/* Local Read Addresses                   */
/******************************************/


/* local read addresses: tile assignments a/b */

/*lr0I*/
v_and_b32 v1, 63, v[vgprSerial]                    // 0. thread id in wave: wtid = tid % wavelength(64)
v_and_b32 v0, 15, v1                               // 1. N offset: nIdx = wtid % MI_N(16)
v_lshlrev_b32 v0, 0x4, v0                          // 1. N offset: nOffset = nIdx * nStride(16)
                                                   // 2. block offset: bnIdx = bnIdx % num1DBlocks(1) is 0. do nothing
v_lshlrev_b32 v0, 0x1, v0                          // 4. apply VectorWidth: bnOffset = bnOffset * vw(2)
v_lshrrev_b32 v1, 4, v1                            // 5. K offset: kIdx = wtid / (MIN(16) * MIBB(1))
v_lshlrev_b32 v1, 0x1, v1                          // 5. K offset: lrKOffset = kIdx * mStride(2)
_v_add_u32 v0, v1, v0                              // 6. offset in wave: lrOffset = bnOffset + lrKOffset
v_lshrrev_b32 v2, 6, v[vgprSerial]                 // 7. wave offset in N dimen: wtid = tid / dividedForWaveId(64)
v_and_b32 v1, 3, v2                                // 7. wave offset in M dimen: wtid0 = wtid / num1DWaves(4)
v_lshlrev_b32 v1, 0x9, v1                          // 7. wave offset in M dimen: wOffset = wtid0 * W0Stride(512)
_v_add_u32 v0, v1, v0                              // 8. final local read offset: flrOffset = lrOffset + WOffset
/*lr1J*/
v_and_b32 v2, 63, v[vgprSerial]                    // 0. thread id in wave: wtid = tid % wavelength(64)
v_and_b32 v1, 15, v2                               // 1. N offset: nIdx = wtid % MI_N(16)
v_lshlrev_b32 v1, 0x4, v1                          // 1. N offset: nOffset = nIdx * nStride(16)
                                                   // 2. block offset: bnIdx = bnIdx % num1DBlocks(1) is 0. do nothing
                                                   // 4. apply VectorWidth: bnOffset = bnOffset * vw(1) (multiplier is 1, do nothing)
v_lshrrev_b32 v2, 4, v2                            // 5. K offset: kIdx = wtid / (MIN(16) * MIBB(1))
v_lshlrev_b32 v2, 0x1, v2                          // 5. K offset: lrKOffset = kIdx * mStride(2)
_v_add_u32 v1, v2, v1                              // 6. offset in wave: lrOffset = bnOffset + lrKOffset


/* local read addresses: final offsets a */

v_lshlrev_b32 v[vgprLocalReadAddrA], 0x3, v0       // Final Offset: offset = (lro0)*bpe
v_lshrrev_b32 v0, 8, v[vgprLocalReadAddrA]         // Final Offset: padding 4 per block 256
v_lshlrev_b32 v0, 0x5, v0                          // Final Offset: padding 4 per block 256
_v_add_u32 v[vgprLocalReadAddrA], v0, v[vgprLocalReadAddrA] // Final Offset: add padding 4 per block 256


/* local read addresses: final offsets b */

v_lshlrev_b32 v[vgprLocalReadAddrB], 0x3, v1       // Final Offset: offset = (lro1)*bpe
v_lshrrev_b32 v0, 7, v[vgprLocalReadAddrB]         // Final Offset: padding 4 per block 128
v_lshlrev_b32 v0, 0x5, v0                          // Final Offset: padding 4 per block 128
_v_add_u32 v[vgprLocalReadAddrB], v0, v[vgprLocalReadAddrB] // Final Offset: add padding 4 per block 128


/* local read addresses: declare addresses a */

/* N/A */


/* local read addresses: declare addresses b */

_v_add_co_u32 v[vgprLocalReadAddrB+0], vcc, 0x9000, v[vgprLocalReadAddrB+0] //  += LdsOffsetB (lower)


/* global read addresses: tile offset assignment a */

/* LVCA = 16 */
/* v0 = (local)groA-tile = serial/LVCA (note (wgA*MTA) will be added to SRD) */
/* v1 = groA-unroll = serial%LVCA */
v_lshrrev_b32 v0, 4, v[vgprSerial]                 // v0 = v[vgprSerial] / 16
v_and_b32 v1, 15, v[vgprSerial]                    // v1 = v[vgprSerial] % 16
/* gro-unroll *= glvw */
                                                   // v1 = v1 * 1 (multiplier is 1, do nothing)


/* global read addresses: tile offset assignment b */

/* LVCB = 16 */
/* v2 = (local)groB-tile = serial/LVCB (note (wgB*MTB) will be added to SRD) */
/* v3 = groB-unroll = serial%LVCB */
v_lshrrev_b32 v2, 4, v[vgprSerial]                 // v2 = v[vgprSerial] / 16
v_and_b32 v3, 15, v[vgprSerial]                    // v3 = v[vgprSerial] % 16
/* gro-unroll *= glvw */
                                                   // v3 = v3 * 1 (multiplier is 1, do nothing)


/******************************************/
/* Local Write Addresses                  */
/******************************************/

/* lwaTileAssignmentA = v0 */

/* lwaTileAssignmentB = v2 */

/* lwaUnrollAssignmentA = v1 */

/* lwaUnrollAssignmentB = v3 */


/* local write addresses: first offset a */

v_mul_u32_u24 v[vgprLocalWriteAddrA], 0x10, v0     // lwAL**(DepthU_Compute + PAD)
_v_add_lshl_u32 v[vgprLocalWriteAddrA], v1, v[vgprLocalWriteAddrA], 0x3 // lwFOA = (lwAA + lwAL*(DepthU+PAD))*bpe
v_lshrrev_b32 v4, 8, v[vgprLocalWriteAddrA]        // padding 4 per block 256
v_lshlrev_b32 v4, 0x5, v4                          // padding 4 per block 256
_v_add_u32 v[vgprLocalWriteAddrA], v4, v[vgprLocalWriteAddrA] // add padding 4 per block 256


/* local write addresses: first offset b */

v_mul_u32_u24 v[vgprLocalWriteAddrB], 0x10, v2     // lwBL**(DepthU_Compute + PAD)
_v_add_lshl_u32 v[vgprLocalWriteAddrB], v3, v[vgprLocalWriteAddrB], 0x3 // lwFOB = (lwBB + lwBL*(DepthU+PAD))*bpe
v_lshrrev_b32 v4, 7, v[vgprLocalWriteAddrB]        // padding 4 per block 128
v_lshlrev_b32 v4, 0x5, v4                          // padding 4 per block 128
_v_add_u32 v[vgprLocalWriteAddrB], v4, v[vgprLocalWriteAddrB] // add padding 4 per block 128
_v_add_co_u32 v[vgprLocalWriteAddrB], vcc, 0x9000, v[vgprLocalWriteAddrB] // lwFOB = lwB1J + lwBL*MT1J + LDS_OFFSET_B=4608*8


	;; [unrolled: 1-line block ×7, first 2 shown]
s_waitcnt lgkmcnt(0)                               // wait for 136 bytes of kern args
s_mov_b64 s[sgprSrdC+0:sgprSrdC+0+1], s[sgprAddressC+0:sgprAddressC+0+1] // copy addressC
s_mov_b64 s[sgprSrdD+0:sgprSrdD+0+1], s[sgprAddressD+0:sgprAddressD+0+1] // copy addressD
s_sub_u32 s[sgprSrdA+0], s[sgprAddressA+0], 8      // pre-pad to make room for possible pointer shift
s_subb_u32 s[sgprSrdA+1], s[sgprAddressA+1], 0     // pre-pad to make room for possible pointer shift
s_sub_u32 s[sgprSrdB+0], s[sgprAddressB+0], 8      // pre-pad to make room for possible pointer shift
s_subb_u32 s[sgprSrdB+1], s[sgprAddressB+1], 0     // pre-pad to make room for possible pointer shift

.set AddressD, UNDEF
.set AddressC, UNDEF
.set AddressA, UNDEF
.set AddressB, UNDEF

/* Short circuit condition if Alpha == 0, then sumDims=0 */
v_cmp_eq_f32 vcc, s[sgprAlpha], 0.0                // Alpha.real == 0.0f ?
s_cbranch_vccz label_AlphaNonZero                  // branch if Alpha.real != 0
v_cmp_eq_f32 vcc, s[sgprAlpha+1], 0.0              // Alpha.imag == 0.0f ?
s_cbranch_vccz label_AlphaNonZero                  // branch if Alpha.imag != 0
s_mov_b32 s[sgprSizesSum+0], 0x0                   // Set summation dim=0 if Alpha == 0
label_AlphaNonZero:


	;; [unrolled: 1-line block ×3, first 2 shown]
/******************************************/
/* Begin setupNewTile, isPap=False           */
/******************************************/


/* global read addresses: work-group */

/* graWorkGroup mapping */
s_mov_b32 s85, 0xaaaaaabL                          // magic number for WGM==12
s_mul_hi_u32 s83, s[sgprWorkGroup1], s85           // s_magic mul
s_mul_i32 s82, s[sgprWorkGroup1], s85              // s_magic mul
s_lshr_b64 s[82:83], s[82:83], 31                  // sMagicDiv
s_mul_i32 s83, s82, 12                             // quotient * non-magic divisor
s_sub_u32 s83, s[sgprWorkGroup1], s83              // WorkGroup1=remainder
s_mul_i32 s83, s83, s[sgprNumWorkGroups0]          // (wg1 % WGM)*nwg0
s_add_u32 s83, s83, s[sgprWorkGroup0]              // wgSerial = wg0 + (wg1 % WGM)*nwg1
s_cmp_ge_u32 s82, s[sgprNumFullBlocks]             // blockId >= numFullBlocks ?
s_cmov_b32 s85, s[sgprMagicNumberWgmRemainder1]    // 
s_cselect_b32 s84, s[sgprWgmRemainder1], 12        // 
s_mul_hi_u32 s3, s83, s85                          // s_magic mul
s_mul_i32 s2, s83, s85                             // s_magic mul
s_lshr_b64 s[2:3], s[2:3], 31                      // sMagicDiv
s_mul_i32 s[sgprWorkGroup1], s[sgprWorkGroup0], s84 // quotient * non-magic divisor
s_sub_u32 s[sgprWorkGroup1], s83, s[sgprWorkGroup1] // WorkGroup1=remainder
s_mul_i32 s82, s82, 12                             // blockId * WGM
s_add_u32 s[sgprWorkGroup1], s[sgprWorkGroup1], s82 // wg1 += blockId * WGM


/* global read addresses: unroll assignment a */

/* v1 */


/* global read addresses: unroll assignment b */

/* v3 */


/* global read addresses: other free assignments */

/* s[sgprWorkGroup2] */


/* global read addresses: tile offsets a */



/* global read addresses: tile offsets b */


	;; [unrolled: 1-line block ×3, first 2 shown]
/* global read addresses: unroll offsets a */


	;; [unrolled: 1-line block ×3, first 2 shown]
/* global read addresses: unroll offsets b */


	;; [unrolled: 1-line block ×3, first 2 shown]
/* global read addresses: branch a */


	;; [unrolled: 1-line block ×3, first 2 shown]
/* global read addresses: branch b */


	;; [unrolled: 1-line block ×3, first 2 shown]
/* global read addresses: final offsets a */

GLOBAL_OFFSET_A vgprGlobalReadOffsetA+0,  1,  0, 4 // gROA_0_0_0_0
s_mul_i32 s[sgprScalarGlobalReadOffsetA+0], s[sgprStrideA0I], 16 // compute offset diff (scaled tileDim)
s_lshl_b32 s[sgprScalarGlobalReadOffsetA+0], s[sgprScalarGlobalReadOffsetA+0], 0x3 // scalar offset *= bytes/element
s_mul_i32 s[sgprScalarGlobalReadOffsetA+1], s[sgprStrideA0I], 32 // compute offset diff (scaled tileDim)
s_lshl_b32 s[sgprScalarGlobalReadOffsetA+1], s[sgprScalarGlobalReadOffsetA+1], 0x3 // scalar offset *= bytes/element
s_mul_i32 s[sgprScalarGlobalReadOffsetA+2], s[sgprStrideA0I], 48 // compute offset diff (scaled tileDim)
s_lshl_b32 s[sgprScalarGlobalReadOffsetA+2], s[sgprScalarGlobalReadOffsetA+2], 0x3 // scalar offset *= bytes/element
s_mul_i32 s[sgprScalarGlobalReadOffsetA+3], s[sgprStrideA0I], 64 // compute offset diff (scaled tileDim)
s_lshl_b32 s[sgprScalarGlobalReadOffsetA+3], s[sgprScalarGlobalReadOffsetA+3], 0x3 // scalar offset *= bytes/element
s_mul_i32 s[sgprScalarGlobalReadOffsetA+4], s[sgprStrideA0I], 80 // compute offset diff (scaled tileDim)
s_lshl_b32 s[sgprScalarGlobalReadOffsetA+4], s[sgprScalarGlobalReadOffsetA+4], 0x3 // scalar offset *= bytes/element
s_mul_i32 s[sgprScalarGlobalReadOffsetA+5], s[sgprStrideA0I], 96 // compute offset diff (scaled tileDim)
s_lshl_b32 s[sgprScalarGlobalReadOffsetA+5], s[sgprScalarGlobalReadOffsetA+5], 0x3 // scalar offset *= bytes/element
s_mul_i32 s[sgprScalarGlobalReadOffsetA+6], s[sgprStrideA0I], 112 // compute offset diff (scaled tileDim)
s_lshl_b32 s[sgprScalarGlobalReadOffsetA+6], s[sgprScalarGlobalReadOffsetA+6], 0x3 // scalar offset *= bytes/element
s_mul_i32 s[sgprScalarGlobalReadOffsetA+7], s[sgprStrideA0I], 128 // compute offset diff (scaled tileDim)
s_lshl_b32 s[sgprScalarGlobalReadOffsetA+7], s[sgprScalarGlobalReadOffsetA+7], 0x3 // scalar offset *= bytes/element
s_mul_i32 s[sgprScalarGlobalReadOffsetA+8], s[sgprStrideA0I], 144 // compute offset diff (scaled tileDim)
s_lshl_b32 s[sgprScalarGlobalReadOffsetA+8], s[sgprScalarGlobalReadOffsetA+8], 0x3 // scalar offset *= bytes/element
s_mul_i32 s[sgprScalarGlobalReadOffsetA+9], s[sgprStrideA0I], 160 // compute offset diff (scaled tileDim)
s_lshl_b32 s[sgprScalarGlobalReadOffsetA+9], s[sgprScalarGlobalReadOffsetA+9], 0x3 // scalar offset *= bytes/element
s_mul_i32 s[sgprScalarGlobalReadOffsetA+10], s[sgprStrideA0I], 176 // compute offset diff (scaled tileDim)
s_lshl_b32 s[sgprScalarGlobalReadOffsetA+10], s[sgprScalarGlobalReadOffsetA+10], 0x3 // scalar offset *= bytes/element
s_mul_i32 s[sgprScalarGlobalReadOffsetA+11], s[sgprStrideA0I], 192 // compute offset diff (scaled tileDim)
s_lshl_b32 s[sgprScalarGlobalReadOffsetA+11], s[sgprScalarGlobalReadOffsetA+11], 0x3 // scalar offset *= bytes/element
s_mul_i32 s[sgprScalarGlobalReadOffsetA+12], s[sgprStrideA0I], 208 // compute offset diff (scaled tileDim)
s_lshl_b32 s[sgprScalarGlobalReadOffsetA+12], s[sgprScalarGlobalReadOffsetA+12], 0x3 // scalar offset *= bytes/element
s_mul_i32 s[sgprScalarGlobalReadOffsetA+13], s[sgprStrideA0I], 224 // compute offset diff (scaled tileDim)
s_lshl_b32 s[sgprScalarGlobalReadOffsetA+13], s[sgprScalarGlobalReadOffsetA+13], 0x3 // scalar offset *= bytes/element
s_mul_i32 s[sgprScalarGlobalReadOffsetA+14], s[sgprStrideA0I], 240 // compute offset diff (scaled tileDim)
s_lshl_b32 s[sgprScalarGlobalReadOffsetA+14], s[sgprScalarGlobalReadOffsetA+14], 0x3 // scalar offset *= bytes/element


/* global read addresses: final offsets b */

GLOBAL_OFFSET_B vgprGlobalReadOffsetB+0,  3,  2, 4 // gROB_0_0_0_0
s_mul_i32 s[sgprScalarGlobalReadOffsetB+0], s[sgprStrideB1J], 16 // compute offset diff (scaled tileDim)
s_lshl_b32 s[sgprScalarGlobalReadOffsetB+0], s[sgprScalarGlobalReadOffsetB+0], 0x3 // scalar offset *= bytes/element
s_mul_i32 s[sgprScalarGlobalReadOffsetB+1], s[sgprStrideB1J], 32 // compute offset diff (scaled tileDim)
s_lshl_b32 s[sgprScalarGlobalReadOffsetB+1], s[sgprScalarGlobalReadOffsetB+1], 0x3 // scalar offset *= bytes/element
s_mul_i32 s[sgprScalarGlobalReadOffsetB+2], s[sgprStrideB1J], 48 // compute offset diff (scaled tileDim)
s_lshl_b32 s[sgprScalarGlobalReadOffsetB+2], s[sgprScalarGlobalReadOffsetB+2], 0x3 // scalar offset *= bytes/element
s_mul_i32 s[sgprScalarGlobalReadOffsetB+3], s[sgprStrideB1J], 64 // compute offset diff (scaled tileDim)
s_lshl_b32 s[sgprScalarGlobalReadOffsetB+3], s[sgprScalarGlobalReadOffsetB+3], 0x3 // scalar offset *= bytes/element
s_mul_i32 s[sgprScalarGlobalReadOffsetB+4], s[sgprStrideB1J], 80 // compute offset diff (scaled tileDim)
s_lshl_b32 s[sgprScalarGlobalReadOffsetB+4], s[sgprScalarGlobalReadOffsetB+4], 0x3 // scalar offset *= bytes/element
s_mul_i32 s[sgprScalarGlobalReadOffsetB+5], s[sgprStrideB1J], 96 // compute offset diff (scaled tileDim)
s_lshl_b32 s[sgprScalarGlobalReadOffsetB+5], s[sgprScalarGlobalReadOffsetB+5], 0x3 // scalar offset *= bytes/element


/* global read addresses: addresses a */

/* max read offset = size[n] * stride[n-1] */
s_mul_hi_u32 s85, s[sgprWorkGroup0], 256           // WorkGroup[01] * MT
s_mul_i32 s84, s[sgprWorkGroup0], 256              // WorkGroup[01] * MT
s_mul_hi_u32 s85, s84, s[sgprStrideA0I]            // tlu=0, scaled tile-offset by stride
s_mul_i32 s84, s84, s[sgprStrideA0I]               // tlu=0, scaled tile-offset by stride
s_sub_u32 s[sgprShadowLimitA+0], s[sgprTensor2dSizeA], s84 // sub tileStart
s_subb_u32 s[sgprShadowLimitA+1], s[sgprTensor2dSizeA+1], s85 // sub tileStart
s_lshl_b64 s[sgprShadowLimitA:sgprShadowLimitA+1], s[sgprShadowLimitA:sgprShadowLimitA+1], 0x3 // Set limit to use bytes
s_add_u32 s[sgprShadowLimitA+0], s[sgprShadowLimitA+0], 8 // extend limit for pre-pad
s_addc_u32 s[sgprShadowLimitA+1], s[sgprShadowLimitA+1], 0 // extend limit for pre-pad
s_cmp_eq_u32 s[sgprShadowLimitA+1], 0              // are we within 2^32?
s_cselect_b32 s[sgprSrdA+2], s[sgprShadowLimitA+0], BufferLimitA // Move shadow to real if we are within 2^32
s_mul_hi_u32 s83, s[sgprStrideAK], s[sgprWorkGroup2] // Stride*WG
s_mul_i32 s82, s[sgprStrideAK], s[sgprWorkGroup2]  // Stride*WG
s_add_u32 s84, s84, s82                            // accum wg term to tilestart
s_addc_u32 s85, s85, s83                           // accum wg term to tilestart
s_lshl_b64 s[84:85], s[84:85], 0x3                 // tileStart *= BPE
s_add_u32 s[sgprSrdA+0], s[sgprSrdA+0], s84        // SRD base = Address+ tileStart0
s_addc_u32 s[sgprSrdA+1], s[sgprSrdA+1], s85       // SRD base = Address+ tileStart1
s_mov_b32 s[sgprSrdA+3], Srd127_96                 // Set bits 127_96 in SRD


/* global read addresses: addresses b */

/* max read offset = size[n] * stride[n-1] */
s_mul_hi_u32 s85, s[sgprWorkGroup1], 112           // WorkGroup[01] * MT
s_mul_i32 s84, s[sgprWorkGroup1], 112              // WorkGroup[01] * MT
s_mul_hi_u32 s85, s84, s[sgprStrideB1J]            // tlu=0, scaled tile-offset by stride
s_mul_i32 s84, s84, s[sgprStrideB1J]               // tlu=0, scaled tile-offset by stride
s_sub_u32 s[sgprShadowLimitB+0], s[sgprTensor2dSizeB], s84 // sub tileStart
s_subb_u32 s[sgprShadowLimitB+1], s[sgprTensor2dSizeB+1], s85 // sub tileStart
s_lshl_b64 s[sgprShadowLimitB:sgprShadowLimitB+1], s[sgprShadowLimitB:sgprShadowLimitB+1], 0x3 // Set limit to use bytes
s_add_u32 s[sgprShadowLimitB+0], s[sgprShadowLimitB+0], 8 // extend limit for pre-pad
s_addc_u32 s[sgprShadowLimitB+1], s[sgprShadowLimitB+1], 0 // extend limit for pre-pad
s_cmp_eq_u32 s[sgprShadowLimitB+1], 0              // are we within 2^32?
s_cselect_b32 s[sgprSrdB+2], s[sgprShadowLimitB+0], BufferLimitB // Move shadow to real if we are within 2^32
s_mul_hi_u32 s83, s[sgprStrideBK], s[sgprWorkGroup2] // Stride*WG
s_mul_i32 s82, s[sgprStrideBK], s[sgprWorkGroup2]  // Stride*WG
s_add_u32 s84, s84, s82                            // accum wg term to tilestart
s_addc_u32 s85, s85, s83                           // accum wg term to tilestart
s_lshl_b64 s[84:85], s[84:85], 0x3                 // tileStart *= BPE
s_add_u32 s[sgprSrdB+0], s[sgprSrdB+0], s84        // SRD base = Address+ tileStart0
s_addc_u32 s[sgprSrdB+1], s[sgprSrdB+1], s85       // SRD base = Address+ tileStart1
s_mov_b32 s[sgprSrdB+3], Srd127_96                 // Set bits 127_96 in SRD


/* global read addresses: increments a */

s_mov_b32 s[sgprGlobalReadIncsA+0], DepthU*BpeA    // incrA (unrollIdx)


/* global read addresses: increments b */

s_mov_b32 s[sgprGlobalReadIncsB+0], DepthU*BpeB    // incrB (unrollIdx)

/* declare loop num iterations */


s_lshr_b32 s[sgprLoopCounterL], s[sgprSizesSum+0], 4 // s[sgprLoopCounterL] = s[sgprSizesSum+0] / 16
s_mov_b32 s[sgprOrigLoopCounter], s[sgprLoopCounterL] // copy loop counter

s_and_b32 s[sgprStaggerUIter], s[sgprOrigStaggerUIter], s[sgprWorkGroup0] // Compute actual stagger start for this tile
s_lshl_b32 s[sgprStaggerUIter], s[sgprStaggerUIter], 1 // shift by StaggerUStride


/* SRDs += (StaggerUIter) * GlobalReadIncsA+0 */
s_mul_hi_u32 s83, s[sgprStaggerUIter], s[sgprGlobalReadIncsA+0] //  stagger byte offset
s_mul_i32 s82, s[sgprStaggerUIter], s[sgprGlobalReadIncsA+0] //  stagger byte offset
s_mul_hi_u32 s[sgprWrapUA+1], s[sgprLoopCounterL], s[sgprGlobalReadIncsA+0] // Number of bytes accessed by the unroll loop
s_mul_i32 s[sgprWrapUA+0], s[sgprLoopCounterL], s[sgprGlobalReadIncsA+0] // Number of bytes accessed by the unroll loop
s_sub_u32 s[sgprWrapUA+0], s[sgprGlobalReadIncsA+0], s[sgprWrapUA+0] // remove one iteration
s_subb_u32 s[sgprWrapUA+1], 0, s[sgprWrapUA+1]     // remove one iteration
s_add_u32 s[sgprSrdA+0], s[sgprSrdA+0], s82        // gra SRD += inc(lower)
s_addc_u32  s[sgprSrdA+1], s[sgprSrdA+1], s83      // gra SRD += inc(upper)
s_sub_u32 s[sgprShadowLimitA+0], s[sgprShadowLimitA+0], s82 // limit -= inc)
s_subb_u32 s[sgprShadowLimitA+1], s[sgprShadowLimitA+1], s83 // limit -= inc)
s_cmp_eq_u32 s[sgprShadowLimitA+1], 0              // are we within 2^32?
s_cselect_b32 s[sgprSrdA+2], s[sgprShadowLimitA+0], BufferLimitA // Move shadow to real if we are within 2^32


/* SRDs += (StaggerUIter) * GlobalReadIncsB+0 */
s_mul_hi_u32 s83, s[sgprStaggerUIter], s[sgprGlobalReadIncsB+0] //  stagger byte offset
s_mul_i32 s82, s[sgprStaggerUIter], s[sgprGlobalReadIncsB+0] //  stagger byte offset
s_mul_hi_u32 s[sgprWrapUB+1], s[sgprLoopCounterL], s[sgprGlobalReadIncsB+0] // Number of bytes accessed by the unroll loop
s_mul_i32 s[sgprWrapUB+0], s[sgprLoopCounterL], s[sgprGlobalReadIncsB+0] // Number of bytes accessed by the unroll loop
s_sub_u32 s[sgprWrapUB+0], s[sgprGlobalReadIncsB+0], s[sgprWrapUB+0] // remove one iteration
s_subb_u32 s[sgprWrapUB+1], 0, s[sgprWrapUB+1]     // remove one iteration
s_add_u32 s[sgprSrdB+0], s[sgprSrdB+0], s82        // gra SRD += inc(lower)
s_addc_u32  s[sgprSrdB+1], s[sgprSrdB+1], s83      // gra SRD += inc(upper)
s_sub_u32 s[sgprShadowLimitB+0], s[sgprShadowLimitB+0], s82 // limit -= inc)
s_subb_u32 s[sgprShadowLimitB+1], s[sgprShadowLimitB+1], s83 // limit -= inc)
s_cmp_eq_u32 s[sgprShadowLimitB+1], 0              // are we within 2^32?
s_cselect_b32 s[sgprSrdB+2], s[sgprShadowLimitB+0], BufferLimitB // Move shadow to real if we are within 2^32
s_add_u32 s[sgprStaggerUIter], s[sgprStaggerUIter], 2 // Subtract (PGR-1); StaggerUIter now contains target iteration to wrap

/* local read addresses: init pointers a */


/* localReadInitPointers */

/* local read addresses: init pointers b */


/* localReadInitPointers */


/* prefetch: global -> local */

s_cmp_eq_u32 s[sgprLoopCounterL], 0                // at last iteration?
s_setprio 0                                        // optimization store
s_cbranch_scc1 ShadowInitStart_10                  // skip to ShadowInitStart iter b/c numIter==0


_buffer_load_b64 v[vgprG2LA+0:vgprG2LA+0+1], v[vgprGlobalReadOffsetA+0], s[sgprSrdA:sgprSrdA+3], 0, offen offset:0 // G -> Reg 0_0_0_0
_buffer_load_b64 v[vgprG2LA+2:vgprG2LA+2+1], v[vgprGlobalReadOffsetA+0], s[sgprSrdA:sgprSrdA+3], s[sgprScalarGlobalReadOffsetA+0], offen offset:0 // G -> Reg 0_0_1_0
_buffer_load_b64 v[vgprG2LA+4:vgprG2LA+4+1], v[vgprGlobalReadOffsetA+0], s[sgprSrdA:sgprSrdA+3], s[sgprScalarGlobalReadOffsetA+1], offen offset:0 // G -> Reg 0_0_2_0
_buffer_load_b64 v[vgprG2LA+6:vgprG2LA+6+1], v[vgprGlobalReadOffsetA+0], s[sgprSrdA:sgprSrdA+3], s[sgprScalarGlobalReadOffsetA+2], offen offset:0 // G -> Reg 0_0_3_0
_buffer_load_b64 v[vgprG2LA+8:vgprG2LA+8+1], v[vgprGlobalReadOffsetA+0], s[sgprSrdA:sgprSrdA+3], s[sgprScalarGlobalReadOffsetA+3], offen offset:0 // G -> Reg 0_0_4_0
_buffer_load_b64 v[vgprG2LA+10:vgprG2LA+10+1], v[vgprGlobalReadOffsetA+0], s[sgprSrdA:sgprSrdA+3], s[sgprScalarGlobalReadOffsetA+4], offen offset:0 // G -> Reg 0_0_5_0
_buffer_load_b64 v[vgprG2LA+12:vgprG2LA+12+1], v[vgprGlobalReadOffsetA+0], s[sgprSrdA:sgprSrdA+3], s[sgprScalarGlobalReadOffsetA+5], offen offset:0 // G -> Reg 0_0_6_0
_buffer_load_b64 v[vgprG2LA+14:vgprG2LA+14+1], v[vgprGlobalReadOffsetA+0], s[sgprSrdA:sgprSrdA+3], s[sgprScalarGlobalReadOffsetA+6], offen offset:0 // G -> Reg 0_0_7_0
_buffer_load_b64 v[vgprG2LA+16:vgprG2LA+16+1], v[vgprGlobalReadOffsetA+0], s[sgprSrdA:sgprSrdA+3], s[sgprScalarGlobalReadOffsetA+7], offen offset:0 // G -> Reg 0_0_8_0
_buffer_load_b64 v[vgprG2LA+18:vgprG2LA+18+1], v[vgprGlobalReadOffsetA+0], s[sgprSrdA:sgprSrdA+3], s[sgprScalarGlobalReadOffsetA+8], offen offset:0 // G -> Reg 0_0_9_0
_buffer_load_b64 v[vgprG2LA+20:vgprG2LA+20+1], v[vgprGlobalReadOffsetA+0], s[sgprSrdA:sgprSrdA+3], s[sgprScalarGlobalReadOffsetA+9], offen offset:0 // G -> Reg 0_0_10_0
_buffer_load_b64 v[vgprG2LA+22:vgprG2LA+22+1], v[vgprGlobalReadOffsetA+0], s[sgprSrdA:sgprSrdA+3], s[sgprScalarGlobalReadOffsetA+10], offen offset:0 // G -> Reg 0_0_11_0
_buffer_load_b64 v[vgprG2LA+24:vgprG2LA+24+1], v[vgprGlobalReadOffsetA+0], s[sgprSrdA:sgprSrdA+3], s[sgprScalarGlobalReadOffsetA+11], offen offset:0 // G -> Reg 0_0_12_0
_buffer_load_b64 v[vgprG2LA+26:vgprG2LA+26+1], v[vgprGlobalReadOffsetA+0], s[sgprSrdA:sgprSrdA+3], s[sgprScalarGlobalReadOffsetA+12], offen offset:0 // G -> Reg 0_0_13_0
_buffer_load_b64 v[vgprG2LA+28:vgprG2LA+28+1], v[vgprGlobalReadOffsetA+0], s[sgprSrdA:sgprSrdA+3], s[sgprScalarGlobalReadOffsetA+13], offen offset:0 // G -> Reg 0_0_14_0
_buffer_load_b64 v[vgprG2LA+30:vgprG2LA+30+1], v[vgprGlobalReadOffsetA+0], s[sgprSrdA:sgprSrdA+3], s[sgprScalarGlobalReadOffsetA+14], offen offset:0 // G -> Reg 0_0_15_0


_buffer_load_b64 v[vgprG2LB+0:vgprG2LB+0+1], v[vgprGlobalReadOffsetB+0], s[sgprSrdB:sgprSrdB+3], 0, offen offset:0 // G -> Reg 0_0_0_0
_buffer_load_b64 v[vgprG2LB+2:vgprG2LB+2+1], v[vgprGlobalReadOffsetB+0], s[sgprSrdB:sgprSrdB+3], s[sgprScalarGlobalReadOffsetB+0], offen offset:0 // G -> Reg 0_0_1_0
_buffer_load_b64 v[vgprG2LB+4:vgprG2LB+4+1], v[vgprGlobalReadOffsetB+0], s[sgprSrdB:sgprSrdB+3], s[sgprScalarGlobalReadOffsetB+1], offen offset:0 // G -> Reg 0_0_2_0
_buffer_load_b64 v[vgprG2LB+6:vgprG2LB+6+1], v[vgprGlobalReadOffsetB+0], s[sgprSrdB:sgprSrdB+3], s[sgprScalarGlobalReadOffsetB+2], offen offset:0 // G -> Reg 0_0_3_0
_buffer_load_b64 v[vgprG2LB+8:vgprG2LB+8+1], v[vgprGlobalReadOffsetB+0], s[sgprSrdB:sgprSrdB+3], s[sgprScalarGlobalReadOffsetB+3], offen offset:0 // G -> Reg 0_0_4_0
_buffer_load_b64 v[vgprG2LB+10:vgprG2LB+10+1], v[vgprGlobalReadOffsetB+0], s[sgprSrdB:sgprSrdB+3], s[sgprScalarGlobalReadOffsetB+4], offen offset:0 // G -> Reg 0_0_5_0
_buffer_load_b64 v[vgprG2LB+12:vgprG2LB+12+1], v[vgprGlobalReadOffsetB+0], s[sgprSrdB:sgprSrdB+3], s[sgprScalarGlobalReadOffsetB+5], offen offset:0 // G -> Reg 0_0_6_0


/* global read inc A loopL */
s_add_u32 s84, s[sgprLoopCounterL], 1              // remove pf(1)
s_cmp_eq_u32 s[sgprStaggerUIter], s84              // Is this wrapIter? (pf)
s_cselect_b32 s82, s[sgprWrapUA+0], s[sgprGlobalReadIncsA+0] // incLower <- ?
s_cselect_b32 s83, s[sgprWrapUA+1], 0              // incUpper <- ?
s_add_u32 s[sgprSrdA+0], s[sgprSrdA+0], s82        // gra SRD += inc(lower)
s_addc_u32  s[sgprSrdA+1], s[sgprSrdA+1], s83      // gra SRD += inc(upper)
s_sub_u32 s[sgprShadowLimitA+0], s[sgprShadowLimitA+0], s82 // limit -= inc)
s_subb_u32 s[sgprShadowLimitA+1], s[sgprShadowLimitA+1], s83 // limit -= inc)
s_cmp_eq_u32 s[sgprShadowLimitA+1], 0              // are we within 2^32?
s_cselect_b32 s[sgprSrdA+2], s[sgprShadowLimitA+0], BufferLimitA // Move shadow to real if we are within 2^32

/* global read inc B loopL */
s_add_u32 s84, s[sgprLoopCounterL], 1              // remove pf(1)
s_cmp_eq_u32 s[sgprStaggerUIter], s84              // Is this wrapIter? (pf)
s_cselect_b32 s82, s[sgprWrapUB+0], s[sgprGlobalReadIncsB+0] // incLower <- ?
s_cselect_b32 s83, s[sgprWrapUB+1], 0              // incUpper <- ?
s_add_u32 s[sgprSrdB+0], s[sgprSrdB+0], s82        // gra SRD += inc(lower)
s_addc_u32  s[sgprSrdB+1], s[sgprSrdB+1], s83      // gra SRD += inc(upper)
s_sub_u32 s[sgprShadowLimitB+0], s[sgprShadowLimitB+0], s82 // limit -= inc)
s_subb_u32 s[sgprShadowLimitB+1], s[sgprShadowLimitB+1], s83 // limit -= inc)
s_cmp_eq_u32 s[sgprShadowLimitB+1], 0              // are we within 2^32?
s_cselect_b32 s[sgprSrdB+2], s[sgprShadowLimitB+0], BufferLimitB // Move shadow to real if we are within 2^32


/******************************************/
/* End setupNewTile, isPap=False             */
/******************************************/

ShadowInitStart_10: // 

s_mov_b32 s[sgprSrdD+2], BufferOOB                 // 
s_mov_b32 s[sgprSrdD+3], Srd127_96                 // Set bits 127_96 in post-loop SRD

s_mov_b32 s[sgprSrdC+2], BufferOOB                 // 
s_mov_b32 s[sgprSrdC+3], Srd127_96                 // Set bits 127_96 in post-loop SRD


s_mul_i32 s84, MT1, s[sgprWorkGroup1]              // <- wg1*MT1
s_mul_hi_u32 s83, s84, s[sgprStrideC1J]            // CScale s84 by Stride
s_mul_i32 s82, s84, s[sgprStrideC1J]               // CScale s84 by Stride
s_lshl_b64 s[82:83], s[82:83], 3                   // scale by bpe
s_add_u32 s[sgprSrdC+0], s[sgprSrdC+0], s82        // add lo to SRD
s_addc_u32 s[sgprSrdC+1], s[sgprSrdC+1], s83       // add hi to SRD
s_mul_hi_u32 s83, s84, s[sgprStrideD1J]            // Scale s84 by Stride
s_mul_i32 s82, s84, s[sgprStrideD1J]               // Scale s84 by Stride
s_lshl_b64 s[82:83], s[82:83], 3                   // scale by bpe
s_add_u32 s[sgprSrdD+0], s[sgprSrdD+0], s82        // add lo to SRD
s_addc_u32 s[sgprSrdD+1], s[sgprSrdD+1], s83       // add hi to SRD

s_mul_hi_u32 s83, s[sgprWorkGroup2], s[sgprStrideCK] // CScale s[sgprWorkGroup2] by Stride
s_mul_i32 s82, s[sgprWorkGroup2], s[sgprStrideCK]  // CScale s[sgprWorkGroup2] by Stride
s_lshl_b64 s[82:83], s[82:83], 3                   // scale by bpe
s_add_u32 s[sgprSrdC+0], s[sgprSrdC+0], s82        // add lo to SRD
s_addc_u32 s[sgprSrdC+1], s[sgprSrdC+1], s83       // add hi to SRD
s_mul_hi_u32 s83, s[sgprWorkGroup2], s[sgprStrideDK] // Scale s[sgprWorkGroup2] by Stride
s_mul_i32 s82, s[sgprWorkGroup2], s[sgprStrideDK]  // Scale s[sgprWorkGroup2] by Stride
s_lshl_b64 s[82:83], s[82:83], 3                   // scale by bpe
s_add_u32 s[sgprSrdD+0], s[sgprSrdD+0], s82        // add lo to SRD
s_addc_u32 s[sgprSrdD+1], s[sgprSrdD+1], s83       // add hi to SRD


	;; [unrolled: 1-line block ×3, first 2 shown]
/* initC: remove C-tile 0-0 from pool */

/* initC: remove AB-tile 0-88 from pool */
v_accvgpr_write acc0, 0x0                          // initC
v_accvgpr_write acc1, 0x0                          // initC
v_accvgpr_write acc2, 0x0                          // initC
v_accvgpr_write acc3, 0x0                          // initC
v_accvgpr_write acc4, 0x0                          // initC
v_accvgpr_write acc5, 0x0                          // initC
v_accvgpr_write acc6, 0x0                          // initC
v_accvgpr_write acc7, 0x0                          // initC
v_accvgpr_write acc8, 0x0                          // initC
v_accvgpr_write acc9, 0x0                          // initC
v_accvgpr_write acc10, 0x0                         // initC
v_accvgpr_write acc11, 0x0                         // initC
v_accvgpr_write acc12, 0x0                         // initC
v_accvgpr_write acc13, 0x0                         // initC
v_accvgpr_write acc14, 0x0                         // initC
v_accvgpr_write acc15, 0x0                         // initC
v_accvgpr_write acc16, 0x0                         // initC
v_accvgpr_write acc17, 0x0                         // initC
v_accvgpr_write acc18, 0x0                         // initC
v_accvgpr_write acc19, 0x0                         // initC
v_accvgpr_write acc20, 0x0                         // initC
v_accvgpr_write acc21, 0x0                         // initC
v_accvgpr_write acc22, 0x0                         // initC
v_accvgpr_write acc23, 0x0                         // initC
v_accvgpr_write acc24, 0x0                         // initC
v_accvgpr_write acc25, 0x0                         // initC
v_accvgpr_write acc26, 0x0                         // initC
v_accvgpr_write acc27, 0x0                         // initC
v_accvgpr_write acc28, 0x0                         // initC
v_accvgpr_write acc29, 0x0                         // initC
v_accvgpr_write acc30, 0x0                         // initC
v_accvgpr_write acc31, 0x0                         // initC
v_accvgpr_write acc32, 0x0                         // initC
v_accvgpr_write acc33, 0x0                         // initC
v_accvgpr_write acc34, 0x0                         // initC
v_accvgpr_write acc35, 0x0                         // initC
v_accvgpr_write acc36, 0x0                         // initC
v_accvgpr_write acc37, 0x0                         // initC
v_accvgpr_write acc38, 0x0                         // initC
v_accvgpr_write acc39, 0x0                         // initC
v_accvgpr_write acc40, 0x0                         // initC
v_accvgpr_write acc41, 0x0                         // initC
v_accvgpr_write acc42, 0x0                         // initC
v_accvgpr_write acc43, 0x0                         // initC
v_accvgpr_write acc44, 0x0                         // initC
v_accvgpr_write acc45, 0x0                         // initC
v_accvgpr_write acc46, 0x0                         // initC
v_accvgpr_write acc47, 0x0                         // initC
v_accvgpr_write acc48, 0x0                         // initC
v_accvgpr_write acc49, 0x0                         // initC
v_accvgpr_write acc50, 0x0                         // initC
v_accvgpr_write acc51, 0x0                         // initC
v_accvgpr_write acc52, 0x0                         // initC
v_accvgpr_write acc53, 0x0                         // initC
v_accvgpr_write acc54, 0x0                         // initC
v_accvgpr_write acc55, 0x0                         // initC
v_accvgpr_write acc56, 0x0                         // initC
v_accvgpr_write acc57, 0x0                         // initC
v_accvgpr_write acc58, 0x0                         // initC
v_accvgpr_write acc59, 0x0                         // initC
v_accvgpr_write acc60, 0x0                         // initC
v_accvgpr_write acc61, 0x0                         // initC
v_accvgpr_write acc62, 0x0                         // initC
v_accvgpr_write acc63, 0x0                         // initC
v_accvgpr_write acc64, 0x0                         // initC
v_accvgpr_write acc65, 0x0                         // initC
v_accvgpr_write acc66, 0x0                         // initC
v_accvgpr_write acc67, 0x0                         // initC
v_accvgpr_write acc68, 0x0                         // initC
v_accvgpr_write acc69, 0x0                         // initC
v_accvgpr_write acc70, 0x0                         // initC
v_accvgpr_write acc71, 0x0                         // initC
v_accvgpr_write acc72, 0x0                         // initC
v_accvgpr_write acc73, 0x0                         // initC
v_accvgpr_write acc74, 0x0                         // initC
v_accvgpr_write acc75, 0x0                         // initC
v_accvgpr_write acc76, 0x0                         // initC
v_accvgpr_write acc77, 0x0                         // initC
v_accvgpr_write acc78, 0x0                         // initC
v_accvgpr_write acc79, 0x0                         // initC
v_accvgpr_write acc80, 0x0                         // initC
v_accvgpr_write acc81, 0x0                         // initC
v_accvgpr_write acc82, 0x0                         // initC
v_accvgpr_write acc83, 0x0                         // initC
v_accvgpr_write acc84, 0x0                         // initC
v_accvgpr_write acc85, 0x0                         // initC
v_accvgpr_write acc86, 0x0                         // initC
v_accvgpr_write acc87, 0x0                         // initC
v_accvgpr_write acc88, 0x0                         // initC
v_accvgpr_write acc89, 0x0                         // initC
v_accvgpr_write acc90, 0x0                         // initC
v_accvgpr_write acc91, 0x0                         // initC
v_accvgpr_write acc92, 0x0                         // initC
v_accvgpr_write acc93, 0x0                         // initC
v_accvgpr_write acc94, 0x0                         // initC
v_accvgpr_write acc95, 0x0                         // initC
v_accvgpr_write acc96, 0x0                         // initC
v_accvgpr_write acc97, 0x0                         // initC
v_accvgpr_write acc98, 0x0                         // initC
v_accvgpr_write acc99, 0x0                         // initC
v_accvgpr_write acc100, 0x0                        // initC
v_accvgpr_write acc101, 0x0                        // initC
v_accvgpr_write acc102, 0x0                        // initC
v_accvgpr_write acc103, 0x0                        // initC
v_accvgpr_write acc104, 0x0                        // initC
v_accvgpr_write acc105, 0x0                        // initC
v_accvgpr_write acc106, 0x0                        // initC
v_accvgpr_write acc107, 0x0                        // initC
v_accvgpr_write acc108, 0x0                        // initC
v_accvgpr_write acc109, 0x0                        // initC
v_accvgpr_write acc110, 0x0                        // initC
v_accvgpr_write acc111, 0x0                        // initC
v_accvgpr_write acc112, 0x0                        // initC
v_accvgpr_write acc113, 0x0                        // initC
v_accvgpr_write acc114, 0x0                        // initC
v_accvgpr_write acc115, 0x0                        // initC
v_accvgpr_write acc116, 0x0                        // initC
v_accvgpr_write acc117, 0x0                        // initC
v_accvgpr_write acc118, 0x0                        // initC
v_accvgpr_write acc119, 0x0                        // initC
v_accvgpr_write acc120, 0x0                        // initC
v_accvgpr_write acc121, 0x0                        // initC
v_accvgpr_write acc122, 0x0                        // initC
v_accvgpr_write acc123, 0x0                        // initC
v_accvgpr_write acc124, 0x0                        // initC
v_accvgpr_write acc125, 0x0                        // initC
v_accvgpr_write acc126, 0x0                        // initC
v_accvgpr_write acc127, 0x0                        // initC
v_accvgpr_write acc128, 0x0                        // initC
v_accvgpr_write acc129, 0x0                        // initC
v_accvgpr_write acc130, 0x0                        // initC
v_accvgpr_write acc131, 0x0                        // initC
v_accvgpr_write acc132, 0x0                        // initC
v_accvgpr_write acc133, 0x0                        // initC
v_accvgpr_write acc134, 0x0                        // initC
v_accvgpr_write acc135, 0x0                        // initC
v_accvgpr_write acc136, 0x0                        // initC
v_accvgpr_write acc137, 0x0                        // initC
v_accvgpr_write acc138, 0x0                        // initC
v_accvgpr_write acc139, 0x0                        // initC
v_accvgpr_write acc140, 0x0                        // initC
v_accvgpr_write acc141, 0x0                        // initC
v_accvgpr_write acc142, 0x0                        // initC
v_accvgpr_write acc143, 0x0                        // initC
v_accvgpr_write acc144, 0x0                        // initC
v_accvgpr_write acc145, 0x0                        // initC
v_accvgpr_write acc146, 0x0                        // initC
v_accvgpr_write acc147, 0x0                        // initC
v_accvgpr_write acc148, 0x0                        // initC
v_accvgpr_write acc149, 0x0                        // initC
v_accvgpr_write acc150, 0x0                        // initC
v_accvgpr_write acc151, 0x0                        // initC
v_accvgpr_write acc152, 0x0                        // initC
v_accvgpr_write acc153, 0x0                        // initC
v_accvgpr_write acc154, 0x0                        // initC
v_accvgpr_write acc155, 0x0                        // initC
v_accvgpr_write acc156, 0x0                        // initC
v_accvgpr_write acc157, 0x0                        // initC
v_accvgpr_write acc158, 0x0                        // initC
v_accvgpr_write acc159, 0x0                        // initC
v_accvgpr_write acc160, 0x0                        // initC
v_accvgpr_write acc161, 0x0                        // initC
v_accvgpr_write acc162, 0x0                        // initC
v_accvgpr_write acc163, 0x0                        // initC
v_accvgpr_write acc164, 0x0                        // initC
v_accvgpr_write acc165, 0x0                        // initC
v_accvgpr_write acc166, 0x0                        // initC
v_accvgpr_write acc167, 0x0                        // initC
v_accvgpr_write acc168, 0x0                        // initC
v_accvgpr_write acc169, 0x0                        // initC
v_accvgpr_write acc170, 0x0                        // initC
v_accvgpr_write acc171, 0x0                        // initC
v_accvgpr_write acc172, 0x0                        // initC
v_accvgpr_write acc173, 0x0                        // initC
v_accvgpr_write acc174, 0x0                        // initC
v_accvgpr_write acc175, 0x0                        // initC
v_accvgpr_write acc176, 0x0                        // initC
v_accvgpr_write acc177, 0x0                        // initC
v_accvgpr_write acc178, 0x0                        // initC
v_accvgpr_write acc179, 0x0                        // initC
v_accvgpr_write acc180, 0x0                        // initC
v_accvgpr_write acc181, 0x0                        // initC
v_accvgpr_write acc182, 0x0                        // initC
v_accvgpr_write acc183, 0x0                        // initC
v_accvgpr_write acc184, 0x0                        // initC
v_accvgpr_write acc185, 0x0                        // initC
v_accvgpr_write acc186, 0x0                        // initC
v_accvgpr_write acc187, 0x0                        // initC
v_accvgpr_write acc188, 0x0                        // initC
v_accvgpr_write acc189, 0x0                        // initC
v_accvgpr_write acc190, 0x0                        // initC
v_accvgpr_write acc191, 0x0                        // initC
v_accvgpr_write acc192, 0x0                        // initC
v_accvgpr_write acc193, 0x0                        // initC
v_accvgpr_write acc194, 0x0                        // initC
v_accvgpr_write acc195, 0x0                        // initC
v_accvgpr_write acc196, 0x0                        // initC
v_accvgpr_write acc197, 0x0                        // initC
v_accvgpr_write acc198, 0x0                        // initC
v_accvgpr_write acc199, 0x0                        // initC
v_accvgpr_write acc200, 0x0                        // initC
v_accvgpr_write acc201, 0x0                        // initC
v_accvgpr_write acc202, 0x0                        // initC
v_accvgpr_write acc203, 0x0                        // initC
v_accvgpr_write acc204, 0x0                        // initC
v_accvgpr_write acc205, 0x0                        // initC
v_accvgpr_write acc206, 0x0                        // initC
v_accvgpr_write acc207, 0x0                        // initC
v_accvgpr_write acc208, 0x0                        // initC
v_accvgpr_write acc209, 0x0                        // initC
v_accvgpr_write acc210, 0x0                        // initC
v_accvgpr_write acc211, 0x0                        // initC
v_accvgpr_write acc212, 0x0                        // initC
v_accvgpr_write acc213, 0x0                        // initC
v_accvgpr_write acc214, 0x0                        // initC
v_accvgpr_write acc215, 0x0                        // initC
v_accvgpr_write acc216, 0x0                        // initC
v_accvgpr_write acc217, 0x0                        // initC
v_accvgpr_write acc218, 0x0                        // initC
v_accvgpr_write acc219, 0x0                        // initC
v_accvgpr_write acc220, 0x0                        // initC
v_accvgpr_write acc221, 0x0                        // initC
v_accvgpr_write acc222, 0x0                        // initC
v_accvgpr_write acc223, 0x0                        // initC

s_cmp_eq_u32 s[sgprLoopCounterL], 0                // at last iteration?

/* after InitC, skip to end of prefetch last iter if numIter==0 */
s_cbranch_scc0 label_NoBranch_11                   // Only branch on scc1
s_getpc_B64 s[82:83]                               // addr of next instr
s_add_i32 s84, PrefetchGlobalLastIterEnd_5, 0x4    // target branch offset
s_add_u32 s82, s82, s84                            // add target branch offset
s_addc_u32 s83, s83, 0                             // add high and carry
s_setpc_b64 s[82:83]                               // branch to PrefetchGlobalLastIterEnd_5
label_NoBranch_11:

s_waitcnt vmcnt(0)                                 // lgkmcnt=-1 vmcnt=0 8wait for global read


/* local write a */
_ds_store_b64 v[vgprLocalWriteAddrA], v[vgprG2LA+0:vgprG2LA+0+1] offset:0 // lwoA_0_0_0_0 = (0*LSCA)*(MT0I+PAD) + (0*LSPA) = 0
_ds_store_b64 v[vgprLocalWriteAddrA], v[vgprG2LA+2:vgprG2LA+2+1] offset:2304 // lwoA_0_0_1_0 = (0*LSCA)*(MT0I+PAD) + (1*LSPA) = 2304
_ds_store_b64 v[vgprLocalWriteAddrA], v[vgprG2LA+4:vgprG2LA+4+1] offset:4608 // lwoA_0_0_2_0 = (0*LSCA)*(MT0I+PAD) + (2*LSPA) = 4608
_ds_store_b64 v[vgprLocalWriteAddrA], v[vgprG2LA+6:vgprG2LA+6+1] offset:6912 // lwoA_0_0_3_0 = (0*LSCA)*(MT0I+PAD) + (3*LSPA) = 6912
_ds_store_b64 v[vgprLocalWriteAddrA], v[vgprG2LA+8:vgprG2LA+8+1] offset:9216 // lwoA_0_0_4_0 = (0*LSCA)*(MT0I+PAD) + (4*LSPA) = 9216
_ds_store_b64 v[vgprLocalWriteAddrA], v[vgprG2LA+10:vgprG2LA+10+1] offset:11520 // lwoA_0_0_5_0 = (0*LSCA)*(MT0I+PAD) + (5*LSPA) = 11520
_ds_store_b64 v[vgprLocalWriteAddrA], v[vgprG2LA+12:vgprG2LA+12+1] offset:13824 // lwoA_0_0_6_0 = (0*LSCA)*(MT0I+PAD) + (6*LSPA) = 13824
_ds_store_b64 v[vgprLocalWriteAddrA], v[vgprG2LA+14:vgprG2LA+14+1] offset:16128 // lwoA_0_0_7_0 = (0*LSCA)*(MT0I+PAD) + (7*LSPA) = 16128
_ds_store_b64 v[vgprLocalWriteAddrA], v[vgprG2LA+16:vgprG2LA+16+1] offset:18432 // lwoA_0_0_8_0 = (0*LSCA)*(MT0I+PAD) + (8*LSPA) = 18432
_ds_store_b64 v[vgprLocalWriteAddrA], v[vgprG2LA+18:vgprG2LA+18+1] offset:20736 // lwoA_0_0_9_0 = (0*LSCA)*(MT0I+PAD) + (9*LSPA) = 20736
_ds_store_b64 v[vgprLocalWriteAddrA], v[vgprG2LA+20:vgprG2LA+20+1] offset:23040 // lwoA_0_0_10_0 = (0*LSCA)*(MT0I+PAD) + (10*LSPA) = 23040
_ds_store_b64 v[vgprLocalWriteAddrA], v[vgprG2LA+22:vgprG2LA+22+1] offset:25344 // lwoA_0_0_11_0 = (0*LSCA)*(MT0I+PAD) + (11*LSPA) = 25344
_ds_store_b64 v[vgprLocalWriteAddrA], v[vgprG2LA+24:vgprG2LA+24+1] offset:27648 // lwoA_0_0_12_0 = (0*LSCA)*(MT0I+PAD) + (12*LSPA) = 27648
_ds_store_b64 v[vgprLocalWriteAddrA], v[vgprG2LA+26:vgprG2LA+26+1] offset:29952 // lwoA_0_0_13_0 = (0*LSCA)*(MT0I+PAD) + (13*LSPA) = 29952
_ds_store_b64 v[vgprLocalWriteAddrA], v[vgprG2LA+28:vgprG2LA+28+1] offset:32256 // lwoA_0_0_14_0 = (0*LSCA)*(MT0I+PAD) + (14*LSPA) = 32256
_ds_store_b64 v[vgprLocalWriteAddrA], v[vgprG2LA+30:vgprG2LA+30+1] offset:34560 // lwoA_0_0_15_0 = (0*LSCA)*(MT0I+PAD) + (15*LSPA) = 34560

/* local write b */
_ds_store_b64 v[vgprLocalWriteAddrB], v[vgprG2LB+0:vgprG2LB+0+1] offset:0 // lwoB_0_0_0_0 = (0*LSCB)*(MT1J+PAD) + (0*LSPB) = 0
_ds_store_b64 v[vgprLocalWriteAddrB], v[vgprG2LB+2:vgprG2LB+2+1] offset:2560 // lwoB_0_0_1_0 = (0*LSCB)*(MT1J+PAD) + (1*LSPB) = 2560
_ds_store_b64 v[vgprLocalWriteAddrB], v[vgprG2LB+4:vgprG2LB+4+1] offset:5120 // lwoB_0_0_2_0 = (0*LSCB)*(MT1J+PAD) + (2*LSPB) = 5120
_ds_store_b64 v[vgprLocalWriteAddrB], v[vgprG2LB+6:vgprG2LB+6+1] offset:7680 // lwoB_0_0_3_0 = (0*LSCB)*(MT1J+PAD) + (3*LSPB) = 7680
_ds_store_b64 v[vgprLocalWriteAddrB], v[vgprG2LB+8:vgprG2LB+8+1] offset:10240 // lwoB_0_0_4_0 = (0*LSCB)*(MT1J+PAD) + (4*LSPB) = 10240
_ds_store_b64 v[vgprLocalWriteAddrB], v[vgprG2LB+10:vgprG2LB+10+1] offset:12800 // lwoB_0_0_5_0 = (0*LSCB)*(MT1J+PAD) + (5*LSPB) = 12800
_ds_store_b64 v[vgprLocalWriteAddrB], v[vgprG2LB+12:vgprG2LB+12+1] offset:15360 // lwoB_0_0_6_0 = (0*LSCB)*(MT1J+PAD) + (6*LSPB) = 15360


/* local write swap a */


	;; [unrolled: 1-line block ×3, first 2 shown]
/* local write swap b */


	;; [unrolled: 1-line block ×4, first 2 shown]
s_cmp_eq_u32 s[sgprLoopCounterL] 0x1               // PGR=2 but only 1 loop
s_cbranch_scc1 label_0012                          // PGR=2 but only 1 loop


_buffer_load_b64 v[vgprG2LA+0:vgprG2LA+0+1], v[vgprGlobalReadOffsetA+0], s[sgprSrdA:sgprSrdA+3], 0, offen offset:0 // G -> Reg 0_0_0_0
_buffer_load_b64 v[vgprG2LA+2:vgprG2LA+2+1], v[vgprGlobalReadOffsetA+0], s[sgprSrdA:sgprSrdA+3], s[sgprScalarGlobalReadOffsetA+0], offen offset:0 // G -> Reg 0_0_1_0
_buffer_load_b64 v[vgprG2LA+4:vgprG2LA+4+1], v[vgprGlobalReadOffsetA+0], s[sgprSrdA:sgprSrdA+3], s[sgprScalarGlobalReadOffsetA+1], offen offset:0 // G -> Reg 0_0_2_0
_buffer_load_b64 v[vgprG2LA+6:vgprG2LA+6+1], v[vgprGlobalReadOffsetA+0], s[sgprSrdA:sgprSrdA+3], s[sgprScalarGlobalReadOffsetA+2], offen offset:0 // G -> Reg 0_0_3_0
_buffer_load_b64 v[vgprG2LA+8:vgprG2LA+8+1], v[vgprGlobalReadOffsetA+0], s[sgprSrdA:sgprSrdA+3], s[sgprScalarGlobalReadOffsetA+3], offen offset:0 // G -> Reg 0_0_4_0
_buffer_load_b64 v[vgprG2LA+10:vgprG2LA+10+1], v[vgprGlobalReadOffsetA+0], s[sgprSrdA:sgprSrdA+3], s[sgprScalarGlobalReadOffsetA+4], offen offset:0 // G -> Reg 0_0_5_0
_buffer_load_b64 v[vgprG2LA+12:vgprG2LA+12+1], v[vgprGlobalReadOffsetA+0], s[sgprSrdA:sgprSrdA+3], s[sgprScalarGlobalReadOffsetA+5], offen offset:0 // G -> Reg 0_0_6_0
_buffer_load_b64 v[vgprG2LA+14:vgprG2LA+14+1], v[vgprGlobalReadOffsetA+0], s[sgprSrdA:sgprSrdA+3], s[sgprScalarGlobalReadOffsetA+6], offen offset:0 // G -> Reg 0_0_7_0
_buffer_load_b64 v[vgprG2LA+16:vgprG2LA+16+1], v[vgprGlobalReadOffsetA+0], s[sgprSrdA:sgprSrdA+3], s[sgprScalarGlobalReadOffsetA+7], offen offset:0 // G -> Reg 0_0_8_0
_buffer_load_b64 v[vgprG2LA+18:vgprG2LA+18+1], v[vgprGlobalReadOffsetA+0], s[sgprSrdA:sgprSrdA+3], s[sgprScalarGlobalReadOffsetA+8], offen offset:0 // G -> Reg 0_0_9_0
_buffer_load_b64 v[vgprG2LA+20:vgprG2LA+20+1], v[vgprGlobalReadOffsetA+0], s[sgprSrdA:sgprSrdA+3], s[sgprScalarGlobalReadOffsetA+9], offen offset:0 // G -> Reg 0_0_10_0
_buffer_load_b64 v[vgprG2LA+22:vgprG2LA+22+1], v[vgprGlobalReadOffsetA+0], s[sgprSrdA:sgprSrdA+3], s[sgprScalarGlobalReadOffsetA+10], offen offset:0 // G -> Reg 0_0_11_0
_buffer_load_b64 v[vgprG2LA+24:vgprG2LA+24+1], v[vgprGlobalReadOffsetA+0], s[sgprSrdA:sgprSrdA+3], s[sgprScalarGlobalReadOffsetA+11], offen offset:0 // G -> Reg 0_0_12_0
_buffer_load_b64 v[vgprG2LA+26:vgprG2LA+26+1], v[vgprGlobalReadOffsetA+0], s[sgprSrdA:sgprSrdA+3], s[sgprScalarGlobalReadOffsetA+12], offen offset:0 // G -> Reg 0_0_13_0
_buffer_load_b64 v[vgprG2LA+28:vgprG2LA+28+1], v[vgprGlobalReadOffsetA+0], s[sgprSrdA:sgprSrdA+3], s[sgprScalarGlobalReadOffsetA+13], offen offset:0 // G -> Reg 0_0_14_0
_buffer_load_b64 v[vgprG2LA+30:vgprG2LA+30+1], v[vgprGlobalReadOffsetA+0], s[sgprSrdA:sgprSrdA+3], s[sgprScalarGlobalReadOffsetA+14], offen offset:0 // G -> Reg 0_0_15_0


_buffer_load_b64 v[vgprG2LB+0:vgprG2LB+0+1], v[vgprGlobalReadOffsetB+0], s[sgprSrdB:sgprSrdB+3], 0, offen offset:0 // G -> Reg 0_0_0_0
_buffer_load_b64 v[vgprG2LB+2:vgprG2LB+2+1], v[vgprGlobalReadOffsetB+0], s[sgprSrdB:sgprSrdB+3], s[sgprScalarGlobalReadOffsetB+0], offen offset:0 // G -> Reg 0_0_1_0
_buffer_load_b64 v[vgprG2LB+4:vgprG2LB+4+1], v[vgprGlobalReadOffsetB+0], s[sgprSrdB:sgprSrdB+3], s[sgprScalarGlobalReadOffsetB+1], offen offset:0 // G -> Reg 0_0_2_0
_buffer_load_b64 v[vgprG2LB+6:vgprG2LB+6+1], v[vgprGlobalReadOffsetB+0], s[sgprSrdB:sgprSrdB+3], s[sgprScalarGlobalReadOffsetB+2], offen offset:0 // G -> Reg 0_0_3_0
_buffer_load_b64 v[vgprG2LB+8:vgprG2LB+8+1], v[vgprGlobalReadOffsetB+0], s[sgprSrdB:sgprSrdB+3], s[sgprScalarGlobalReadOffsetB+3], offen offset:0 // G -> Reg 0_0_4_0
_buffer_load_b64 v[vgprG2LB+10:vgprG2LB+10+1], v[vgprGlobalReadOffsetB+0], s[sgprSrdB:sgprSrdB+3], s[sgprScalarGlobalReadOffsetB+4], offen offset:0 // G -> Reg 0_0_5_0
_buffer_load_b64 v[vgprG2LB+12:vgprG2LB+12+1], v[vgprGlobalReadOffsetB+0], s[sgprSrdB:sgprSrdB+3], s[sgprScalarGlobalReadOffsetB+5], offen offset:0 // G -> Reg 0_0_6_0

label_0012:                                        // 

s_waitcnt lgkmcnt(0)                               // lgkmcnt=0 vmcnt=-10prefetch wait for local write

// Skip force waitcnt0
s_barrier //


/* local read prefetch a */

_ds_load_b128 v[vgprValuA_X0_I0+0:vgprValuA_X0_I0+0+3], v[vgprLocalReadAddrA] offset:0 // L -> Reg lro=0 swapByteOffset=0 ti=128 vIdx=0 rIdx=0 oIdx=0 buffer=0 iui=0
_ds_load_b128 v[vgprValuA_X0_I0+4:vgprValuA_X0_I0+4+3], v[vgprLocalReadAddrA] offset:128 // L -> Reg lro=0 swapByteOffset=0 ti=128 vIdx=0 rIdx=0 oIdx=0 buffer=0 iui=0
	;; [unrolled: 1-line block ×4, first 2 shown]


/* local read prefetch b */

_ds_load_b128 v[vgprValuB_X0_I0+0:vgprValuB_X0_I0+0+3], v[vgprLocalReadAddrB] offset:0 // L -> Reg lro=0 swapByteOffset=0 ti=16 vIdx=0 rIdx=0 oIdx=0 buffer=0 iui=0
_ds_load_b128 v[vgprValuB_X0_I0+4:vgprValuB_X0_I0+4+3], v[vgprLocalReadAddrB] offset:2560 // L -> Reg lro=0 swapByteOffset=0 ti=16 vIdx=1 rIdx=0 oIdx=0 buffer=0 iui=0
	;; [unrolled: 1-line block ×7, first 2 shown]


/* local read inc a */

/* N/A, lro->8 */
/* self.localReadDoCntA 1 self.localReadDoCntB 1 */


/* local read inc b */

/* N/A, lro->8 */
/* self.localReadDoCntA 1 self.localReadDoCntB 1 */


	;; [unrolled: 1-line block ×3, first 2 shown]
/******************************************/
/* Unrolled Loop(s) - Begin               */
/******************************************/

openLoopL_13:
s_cmp_eq_u32 s[sgprLoopCounterL], 0x1              // LoopCounterL < EndCounter
s_cbranch_scc1 label_0014                          // PGR=2 but only 1 loop, toPGR1
s_cmp_le_u32 s[sgprLoopCounterL], 0x2              // LoopCounterL < EndCounter
s_cbranch_scc1 LoopEndL_evenexit_4                 // do not enter LoopL
LoopBeginL_1:


/******************************************/
/* Unrolled Loop 1/2 - Begin              */
/******************************************/

label_0015: // LoopCopy1 


/* Begin Each Unroll: Check VGPR.checkin for INT8 LW */



/* iter 0 */

/*  grEndMfmaIndex:6, lwStartMfmaIndex:29, lwEndMfmaIndex:430  */
/*  numMfmaForLR:15, barrierMfmaIndex:432, LocalWritePerMfma:0.055 */
/*  mfmaIndex:0  */
s_waitcnt lgkmcnt(0)                               // lgkmcnt=0 vmcnt=-1wait for prior local read local write old=0, new=0 newLW=0 newLR=0
v_add_f32 v141, -v[vgprValuA_X0_I0+0+0+0+1], 0     // Ai=-Ai
v_mfma_f32_16x16x4_f32 a[0+0:3+0], v[vgprValuB_X0_I0+0+0+0], v[vgprValuA_X0_I0+0+0+0], a[0:3]
 // Cr += Ar*Br
/*  mfmaIndex:1  */
_ds_load_b128 v[vgprValuA_X2_I0+0:vgprValuA_X2_I0+0+3], v[vgprLocalReadAddrA] offset:64 // L -> Reg lro=8 swapByteOffset=0 ti=128 vIdx=0 rIdx=0 oIdx=0 buffer=2 iui=0

/* global read inc A loopL */
s_cmp_eq_u32 s[sgprLoopCounterL], s[sgprStaggerUIter] // Is this the wrapIter?
s_cselect_b32 s82, s[sgprWrapUA+0], s[sgprGlobalReadIncsA+0] // incLower <- ?
s_cselect_b32 s83, s[sgprWrapUA+1], 0              // incUpper <- ?
v_mfma_f32_16x16x4_f32 a[112+0:115+0], v[vgprValuB_X0_I0+0+0+0], v[vgprValuA_X0_I0+0+0+0+1], a[112:115]
 // Ci += Ai*Br
/*  mfmaIndex:2  */
_ds_load_b128 v[vgprValuB_X2_I0+0:vgprValuB_X2_I0+0+3], v[vgprLocalReadAddrB] offset:64 // L -> Reg lro=8 swapByteOffset=0 ti=16 vIdx=0 rIdx=0 oIdx=0 buffer=2 iui=0
s_add_u32 s[sgprSrdA+0], s[sgprSrdA+0], s82        // gra SRD += inc(lower)
s_addc_u32  s[sgprSrdA+1], s[sgprSrdA+1], s83      // gra SRD += inc(upper)
s_sub_u32 s[sgprShadowLimitA+0], s[sgprShadowLimitA+0], s82 // limit -= inc)
v_mfma_f32_16x16x4_f32 a[0+0:3+0], v[vgprValuB_X0_I0+0+0+0+1], v141, a[0:3]
 // Cr += -Ai*Bi
/*  mfmaIndex:3  */
_ds_load_b128 v[vgprValuA_X2_I0+4:vgprValuA_X2_I0+4+3], v[vgprLocalReadAddrA] offset:192 // L -> Reg lro=8 swapByteOffset=0 ti=128 vIdx=0 rIdx=0 oIdx=0 buffer=2 iui=0
s_subb_u32 s[sgprShadowLimitA+1], s[sgprShadowLimitA+1], s83 // limit -= inc)
s_cmp_eq_u32 s[sgprShadowLimitA+1], 0              // are we within 2^32?
s_cselect_b32 s[sgprSrdA+2], s[sgprShadowLimitA+0], BufferLimitA // Move shadow to real if we are within 2^32
v_mfma_f32_16x16x4_f32 a[112+0:115+0], v[vgprValuB_X0_I0+0+0+0+1], v[vgprValuA_X0_I0+0+0+0], a[112:115]
 // Ci += Ar*Bi
/*  mfmaIndex:4  */
_ds_load_b128 v[vgprValuA_X2_I0+8:vgprValuA_X2_I0+8+3], v[vgprLocalReadAddrA] offset:18496 // L -> Reg lro=8 swapByteOffset=0 ti=128 vIdx=1 rIdx=0 oIdx=0 buffer=2 iui=0

/* global read inc B loopL */
s_cmp_eq_u32 s[sgprLoopCounterL], s[sgprStaggerUIter] // Is this the wrapIter?
s_cselect_b32 s82, s[sgprWrapUB+0], s[sgprGlobalReadIncsB+0] // incLower <- ?
s_cselect_b32 s83, s[sgprWrapUB+1], 0              // incUpper <- ?
v_mfma_f32_16x16x4_f32 a[16+0:19+0], v[vgprValuB_X0_I0+4+0+0], v[vgprValuA_X0_I0+0+0+0], a[16:19]
 // Cr += Ar*Br
/*  mfmaIndex:5  */
_ds_load_b128 v[vgprValuA_X2_I0+12:vgprValuA_X2_I0+12+3], v[vgprLocalReadAddrA] offset:18624 // L -> Reg lro=8 swapByteOffset=0 ti=128 vIdx=1 rIdx=0 oIdx=0 buffer=2 iui=0
s_add_u32 s[sgprSrdB+0], s[sgprSrdB+0], s82        // gra SRD += inc(lower)
s_addc_u32  s[sgprSrdB+1], s[sgprSrdB+1], s83      // gra SRD += inc(upper)
s_sub_u32 s[sgprShadowLimitB+0], s[sgprShadowLimitB+0], s82 // limit -= inc)
v_mfma_f32_16x16x4_f32 a[128+0:131+0], v[vgprValuB_X0_I0+4+0+0], v[vgprValuA_X0_I0+0+0+0+1], a[128:131]
 // Ci += Ai*Br
/*  mfmaIndex:6  */
_ds_load_b128 v[vgprValuB_X2_I0+4:vgprValuB_X2_I0+4+3], v[vgprLocalReadAddrB] offset:2624 // L -> Reg lro=8 swapByteOffset=0 ti=16 vIdx=1 rIdx=0 oIdx=0 buffer=2 iui=0
s_subb_u32 s[sgprShadowLimitB+1], s[sgprShadowLimitB+1], s83 // limit -= inc)
s_cmp_eq_u32 s[sgprShadowLimitB+1], 0              // are we within 2^32?
s_cselect_b32 s[sgprSrdB+2], s[sgprShadowLimitB+0], BufferLimitB // Move shadow to real if we are within 2^32
v_mfma_f32_16x16x4_f32 a[16+0:19+0], v[vgprValuB_X0_I0+4+0+0+1], v141, a[16:19]
 // Cr += -Ai*Bi
/*  mfmaIndex:7  */
_ds_load_b128 v[vgprValuB_X2_I0+8:vgprValuB_X2_I0+8+3], v[vgprLocalReadAddrB] offset:5184 // L -> Reg lro=8 swapByteOffset=0 ti=16 vIdx=2 rIdx=0 oIdx=0 buffer=2 iui=0
v_mfma_f32_16x16x4_f32 a[128+0:131+0], v[vgprValuB_X0_I0+4+0+0+1], v[vgprValuA_X0_I0+0+0+0], a[128:131]
 // Ci += Ar*Bi
/*  mfmaIndex:8  */
_ds_load_b128 v[vgprValuB_X2_I0+12:vgprValuB_X2_I0+12+3], v[vgprLocalReadAddrB] offset:7744 // L -> Reg lro=8 swapByteOffset=0 ti=16 vIdx=3 rIdx=0 oIdx=0 buffer=2 iui=0
v_mfma_f32_16x16x4_f32 a[32+0:35+0], v[vgprValuB_X0_I0+8+0+0], v[vgprValuA_X0_I0+0+0+0], a[32:35]
 // Cr += Ar*Br
/*  mfmaIndex:9  */
_ds_load_b128 v[vgprValuB_X2_I0+16:vgprValuB_X2_I0+16+3], v[vgprLocalReadAddrB] offset:10304 // L -> Reg lro=8 swapByteOffset=0 ti=16 vIdx=4 rIdx=0 oIdx=0 buffer=2 iui=0
v_mfma_f32_16x16x4_f32 a[144+0:147+0], v[vgprValuB_X0_I0+8+0+0], v[vgprValuA_X0_I0+0+0+0+1], a[144:147]
 // Ci += Ai*Br
/*  mfmaIndex:10  */
_ds_load_b128 v[vgprValuB_X2_I0+20:vgprValuB_X2_I0+20+3], v[vgprLocalReadAddrB] offset:12864 // L -> Reg lro=8 swapByteOffset=0 ti=16 vIdx=5 rIdx=0 oIdx=0 buffer=2 iui=0
v_mfma_f32_16x16x4_f32 a[32+0:35+0], v[vgprValuB_X0_I0+8+0+0+1], v141, a[32:35]
 // Cr += -Ai*Bi
/*  mfmaIndex:11  */
_ds_load_b128 v[vgprValuB_X2_I0+24:vgprValuB_X2_I0+24+3], v[vgprLocalReadAddrB] offset:15424 // L -> Reg lro=8 swapByteOffset=0 ti=16 vIdx=6 rIdx=0 oIdx=0 buffer=2 iui=0
/* localReadsVacancy: latencyLeft 1 */
v_mfma_f32_16x16x4_f32 a[144+0:147+0], v[vgprValuB_X0_I0+8+0+0+1], v[vgprValuA_X0_I0+0+0+0], a[144:147]
 // Ci += Ar*Bi
/*  mfmaIndex:12  */
/* localReadsVacancy: latencyLeft 5 */
v_mfma_f32_16x16x4_f32 a[48+0:51+0], v[vgprValuB_X0_I0+12+0+0], v[vgprValuA_X0_I0+0+0+0], a[48:51]
 // Cr += Ar*Br
/*  mfmaIndex:13  */
/* localReadsVacancy: latencyLeft 5 */
v_mfma_f32_16x16x4_f32 a[160+0:163+0], v[vgprValuB_X0_I0+12+0+0], v[vgprValuA_X0_I0+0+0+0+1], a[160:163]
 // Ci += Ai*Br
/*  mfmaIndex:14  */
/* localReadsVacancy: latencyLeft 5 */
v_mfma_f32_16x16x4_f32 a[48+0:51+0], v[vgprValuB_X0_I0+12+0+0+1], v141, a[48:51]
 // Cr += -Ai*Bi
/*  mfmaIndex:15  */
/* localReadsVacancy: latencyLeft 5 */
v_mfma_f32_16x16x4_f32 a[160+0:163+0], v[vgprValuB_X0_I0+12+0+0+1], v[vgprValuA_X0_I0+0+0+0], a[160:163]
 // Ci += Ar*Bi
/*  mfmaIndex:16  */
/* localReadsVacancy: latencyLeft 5 */
v_mfma_f32_16x16x4_f32 a[64+0:67+0], v[vgprValuB_X0_I0+16+0+0], v[vgprValuA_X0_I0+0+0+0], a[64:67]
 // Cr += Ar*Br
/*  mfmaIndex:17  */
/* localReadsVacancy: latencyLeft 5 */
v_mfma_f32_16x16x4_f32 a[176+0:179+0], v[vgprValuB_X0_I0+16+0+0], v[vgprValuA_X0_I0+0+0+0+1], a[176:179]
 // Ci += Ai*Br
/*  mfmaIndex:18  */
/* localReadsVacancy: latencyLeft 5 */
v_mfma_f32_16x16x4_f32 a[64+0:67+0], v[vgprValuB_X0_I0+16+0+0+1], v141, a[64:67]
 // Cr += -Ai*Bi
/*  mfmaIndex:19  */
	;; [unrolled: 16-line block ×4, first 2 shown]
/* localReadsVacancy: latencyLeft 5 */
v_mfma_f32_16x16x4_f32 a[208+0:211+0], v[vgprValuB_X0_I0+24+0+0+1], v[vgprValuA_X0_I0+0+0+0], a[208:211]
 // Ci += Ar*Bi
/*  mfmaIndex:28  */
/* localReadsVacancy: latencyLeft 5 */
/* 1 LDS buffer: read-sync-write */
s_waitcnt lgkmcnt(0)                               // 
s_barrier                                          // 
v_add_f32 v141, -v[vgprValuA_X0_I0+4+0+0+1], 0     // Ai=-Ai
v_mfma_f32_16x16x4_f32 a[4+0:7+0], v[vgprValuB_X0_I0+0+0+0], v[vgprValuA_X0_I0+4+0+0], a[4:7]
 // Cr += Ar*Br
/*  mfmaIndex:29  */
s_setprio 3                                        // store optimization
/* sched write - iter 0 writesPerItem=1 */
s_waitcnt vmcnt(0)                                 // lgkmcnt=-1 vmcnt=0wait for global read before writing to local
_ds_store_b64 v[vgprLocalWriteAddrA], v[vgprG2LA+0:vgprG2LA+0+1] offset:0 // lwoA_0_0_0_0 = (0*LSCA)*(MT0I+PAD) + (0*LSPA) = 0
v_mfma_f32_16x16x4_f32 a[116+0:119+0], v[vgprValuB_X0_I0+0+0+0], v[vgprValuA_X0_I0+4+0+0+1], a[116:119]
 // Ci += Ai*Br
/*  mfmaIndex:30  */
_buffer_load_b64 v[vgprG2LA+0:vgprG2LA+0+1], v[vgprGlobalReadOffsetA+0], s[sgprSrdA:sgprSrdA+3], 0, offen offset:0 // G -> Reg 0_0_0_0
v_mfma_f32_16x16x4_f32 a[4+0:7+0], v[vgprValuB_X0_I0+0+0+0+1], v141, a[4:7]
 // Cr += -Ai*Bi
/*  mfmaIndex:31  */
v_mfma_f32_16x16x4_f32 a[116+0:119+0], v[vgprValuB_X0_I0+0+0+0+1], v[vgprValuA_X0_I0+4+0+0], a[116:119]
 // Ci += Ar*Bi
/*  mfmaIndex:32  */
v_mfma_f32_16x16x4_f32 a[20+0:23+0], v[vgprValuB_X0_I0+4+0+0], v[vgprValuA_X0_I0+4+0+0], a[20:23]
 // Cr += Ar*Br
/*  mfmaIndex:33  */
v_mfma_f32_16x16x4_f32 a[132+0:135+0], v[vgprValuB_X0_I0+4+0+0], v[vgprValuA_X0_I0+4+0+0+1], a[132:135]
 // Ci += Ai*Br
/*  mfmaIndex:34  */
v_mfma_f32_16x16x4_f32 a[20+0:23+0], v[vgprValuB_X0_I0+4+0+0+1], v141, a[20:23]
 // Cr += -Ai*Bi
/*  mfmaIndex:35  */
v_mfma_f32_16x16x4_f32 a[132+0:135+0], v[vgprValuB_X0_I0+4+0+0+1], v[vgprValuA_X0_I0+4+0+0], a[132:135]
 // Ci += Ar*Bi
/*  mfmaIndex:36  */
v_mfma_f32_16x16x4_f32 a[36+0:39+0], v[vgprValuB_X0_I0+8+0+0], v[vgprValuA_X0_I0+4+0+0], a[36:39]
 // Cr += Ar*Br
/*  mfmaIndex:37  */
v_mfma_f32_16x16x4_f32 a[148+0:151+0], v[vgprValuB_X0_I0+8+0+0], v[vgprValuA_X0_I0+4+0+0+1], a[148:151]
 // Ci += Ai*Br
/*  mfmaIndex:38  */
	;; [unrolled: 12-line block ×4, first 2 shown]
v_mfma_f32_16x16x4_f32 a[68+0:71+0], v[vgprValuB_X0_I0+16+0+0+1], v141, a[68:71]
 // Cr += -Ai*Bi
/*  mfmaIndex:47  */
/* sched write - iter 0 writesPerItem=1 */
s_waitcnt vmcnt(0)                                 // lgkmcnt=-1 vmcnt=0wait for global read before writing to local
_ds_store_b64 v[vgprLocalWriteAddrA], v[vgprG2LA+2:vgprG2LA+2+1] offset:2304 // lwoA_0_0_1_0 = (0*LSCA)*(MT0I+PAD) + (1*LSPA) = 2304
v_mfma_f32_16x16x4_f32 a[180+0:183+0], v[vgprValuB_X0_I0+16+0+0+1], v[vgprValuA_X0_I0+4+0+0], a[180:183]
 // Ci += Ar*Bi
/*  mfmaIndex:48  */
_buffer_load_b64 v[vgprG2LA+2:vgprG2LA+2+1], v[vgprGlobalReadOffsetA+0], s[sgprSrdA:sgprSrdA+3], s[sgprScalarGlobalReadOffsetA+0], offen offset:0 // G -> Reg 0_0_1_0
v_mfma_f32_16x16x4_f32 a[84+0:87+0], v[vgprValuB_X0_I0+20+0+0], v[vgprValuA_X0_I0+4+0+0], a[84:87]
 // Cr += Ar*Br
/*  mfmaIndex:49  */
v_mfma_f32_16x16x4_f32 a[196+0:199+0], v[vgprValuB_X0_I0+20+0+0], v[vgprValuA_X0_I0+4+0+0+1], a[196:199]
 // Ci += Ai*Br
/*  mfmaIndex:50  */
v_mfma_f32_16x16x4_f32 a[84+0:87+0], v[vgprValuB_X0_I0+20+0+0+1], v141, a[84:87]
 // Cr += -Ai*Bi
/*  mfmaIndex:51  */
v_mfma_f32_16x16x4_f32 a[196+0:199+0], v[vgprValuB_X0_I0+20+0+0+1], v[vgprValuA_X0_I0+4+0+0], a[196:199]
 // Ci += Ar*Bi
/*  mfmaIndex:52  */
v_mfma_f32_16x16x4_f32 a[100+0:103+0], v[vgprValuB_X0_I0+24+0+0], v[vgprValuA_X0_I0+4+0+0], a[100:103]
 // Cr += Ar*Br
/*  mfmaIndex:53  */
v_mfma_f32_16x16x4_f32 a[212+0:215+0], v[vgprValuB_X0_I0+24+0+0], v[vgprValuA_X0_I0+4+0+0+1], a[212:215]
 // Ci += Ai*Br
/*  mfmaIndex:54  */
v_mfma_f32_16x16x4_f32 a[100+0:103+0], v[vgprValuB_X0_I0+24+0+0+1], v141, a[100:103]
 // Cr += -Ai*Bi
/*  mfmaIndex:55  */
v_mfma_f32_16x16x4_f32 a[212+0:215+0], v[vgprValuB_X0_I0+24+0+0+1], v[vgprValuA_X0_I0+4+0+0], a[212:215]
 // Ci += Ar*Bi
/*  mfmaIndex:56  */
v_add_f32 v141, -v[vgprValuA_X0_I0+8+0+0+1], 0     // Ai=-Ai
v_mfma_f32_16x16x4_f32 a[8+0:11+0], v[vgprValuB_X0_I0+0+0+0], v[vgprValuA_X0_I0+8+0+0], a[8:11]
 // Cr += Ar*Br
/*  mfmaIndex:57  */
v_mfma_f32_16x16x4_f32 a[120+0:123+0], v[vgprValuB_X0_I0+0+0+0], v[vgprValuA_X0_I0+8+0+0+1], a[120:123]
 // Ci += Ai*Br
/*  mfmaIndex:58  */
v_mfma_f32_16x16x4_f32 a[8+0:11+0], v[vgprValuB_X0_I0+0+0+0+1], v141, a[8:11]
 // Cr += -Ai*Bi
/*  mfmaIndex:59  */
v_mfma_f32_16x16x4_f32 a[120+0:123+0], v[vgprValuB_X0_I0+0+0+0+1], v[vgprValuA_X0_I0+8+0+0], a[120:123]
 // Ci += Ar*Bi
/*  mfmaIndex:60  */
v_mfma_f32_16x16x4_f32 a[24+0:27+0], v[vgprValuB_X0_I0+4+0+0], v[vgprValuA_X0_I0+8+0+0], a[24:27]
 // Cr += Ar*Br
/*  mfmaIndex:61  */
v_mfma_f32_16x16x4_f32 a[136+0:139+0], v[vgprValuB_X0_I0+4+0+0], v[vgprValuA_X0_I0+8+0+0+1], a[136:139]
 // Ci += Ai*Br
/*  mfmaIndex:62  */
v_mfma_f32_16x16x4_f32 a[24+0:27+0], v[vgprValuB_X0_I0+4+0+0+1], v141, a[24:27]
 // Cr += -Ai*Bi
/*  mfmaIndex:63  */
v_mfma_f32_16x16x4_f32 a[136+0:139+0], v[vgprValuB_X0_I0+4+0+0+1], v[vgprValuA_X0_I0+8+0+0], a[136:139]
 // Ci += Ar*Bi
/*  mfmaIndex:64  */
v_mfma_f32_16x16x4_f32 a[40+0:43+0], v[vgprValuB_X0_I0+8+0+0], v[vgprValuA_X0_I0+8+0+0], a[40:43]
 // Cr += Ar*Br
/*  mfmaIndex:65  */
/* sched write - iter 0 writesPerItem=1 */
s_waitcnt vmcnt(0)                                 // lgkmcnt=-1 vmcnt=0wait for global read before writing to local
_ds_store_b64 v[vgprLocalWriteAddrA], v[vgprG2LA+4:vgprG2LA+4+1] offset:4608 // lwoA_0_0_2_0 = (0*LSCA)*(MT0I+PAD) + (2*LSPA) = 4608
v_mfma_f32_16x16x4_f32 a[152+0:155+0], v[vgprValuB_X0_I0+8+0+0], v[vgprValuA_X0_I0+8+0+0+1], a[152:155]
 // Ci += Ai*Br
/*  mfmaIndex:66  */
_buffer_load_b64 v[vgprG2LA+4:vgprG2LA+4+1], v[vgprGlobalReadOffsetA+0], s[sgprSrdA:sgprSrdA+3], s[sgprScalarGlobalReadOffsetA+1], offen offset:0 // G -> Reg 0_0_2_0
v_mfma_f32_16x16x4_f32 a[40+0:43+0], v[vgprValuB_X0_I0+8+0+0+1], v141, a[40:43]
 // Cr += -Ai*Bi
/*  mfmaIndex:67  */
v_mfma_f32_16x16x4_f32 a[152+0:155+0], v[vgprValuB_X0_I0+8+0+0+1], v[vgprValuA_X0_I0+8+0+0], a[152:155]
 // Ci += Ar*Bi
/*  mfmaIndex:68  */
v_mfma_f32_16x16x4_f32 a[56+0:59+0], v[vgprValuB_X0_I0+12+0+0], v[vgprValuA_X0_I0+8+0+0], a[56:59]
 // Cr += Ar*Br
/*  mfmaIndex:69  */
v_mfma_f32_16x16x4_f32 a[168+0:171+0], v[vgprValuB_X0_I0+12+0+0], v[vgprValuA_X0_I0+8+0+0+1], a[168:171]
 // Ci += Ai*Br
/*  mfmaIndex:70  */
v_mfma_f32_16x16x4_f32 a[56+0:59+0], v[vgprValuB_X0_I0+12+0+0+1], v141, a[56:59]
 // Cr += -Ai*Bi
/*  mfmaIndex:71  */
v_mfma_f32_16x16x4_f32 a[168+0:171+0], v[vgprValuB_X0_I0+12+0+0+1], v[vgprValuA_X0_I0+8+0+0], a[168:171]
 // Ci += Ar*Bi
/*  mfmaIndex:72  */
v_mfma_f32_16x16x4_f32 a[72+0:75+0], v[vgprValuB_X0_I0+16+0+0], v[vgprValuA_X0_I0+8+0+0], a[72:75]
 // Cr += Ar*Br
/*  mfmaIndex:73  */
v_mfma_f32_16x16x4_f32 a[184+0:187+0], v[vgprValuB_X0_I0+16+0+0], v[vgprValuA_X0_I0+8+0+0+1], a[184:187]
 // Ci += Ai*Br
/*  mfmaIndex:74  */
	;; [unrolled: 12-line block ×4, first 2 shown]
v_mfma_f32_16x16x4_f32 a[104+0:107+0], v[vgprValuB_X0_I0+24+0+0+1], v141, a[104:107]
 // Cr += -Ai*Bi
/*  mfmaIndex:83  */
/* sched write - iter 0 writesPerItem=1 */
s_waitcnt vmcnt(0)                                 // lgkmcnt=-1 vmcnt=0wait for global read before writing to local
_ds_store_b64 v[vgprLocalWriteAddrA], v[vgprG2LA+6:vgprG2LA+6+1] offset:6912 // lwoA_0_0_3_0 = (0*LSCA)*(MT0I+PAD) + (3*LSPA) = 6912
v_mfma_f32_16x16x4_f32 a[216+0:219+0], v[vgprValuB_X0_I0+24+0+0+1], v[vgprValuA_X0_I0+8+0+0], a[216:219]
 // Ci += Ar*Bi
/*  mfmaIndex:84  */
_buffer_load_b64 v[vgprG2LA+6:vgprG2LA+6+1], v[vgprGlobalReadOffsetA+0], s[sgprSrdA:sgprSrdA+3], s[sgprScalarGlobalReadOffsetA+2], offen offset:0 // G -> Reg 0_0_3_0
v_add_f32 v141, -v[vgprValuA_X0_I0+12+0+0+1], 0    // Ai=-Ai
v_mfma_f32_16x16x4_f32 a[12+0:15+0], v[vgprValuB_X0_I0+0+0+0], v[vgprValuA_X0_I0+12+0+0], a[12:15]
 // Cr += Ar*Br
/*  mfmaIndex:85  */
v_mfma_f32_16x16x4_f32 a[124+0:127+0], v[vgprValuB_X0_I0+0+0+0], v[vgprValuA_X0_I0+12+0+0+1], a[124:127]
 // Ci += Ai*Br
/*  mfmaIndex:86  */
v_mfma_f32_16x16x4_f32 a[12+0:15+0], v[vgprValuB_X0_I0+0+0+0+1], v141, a[12:15]
 // Cr += -Ai*Bi
/*  mfmaIndex:87  */
v_mfma_f32_16x16x4_f32 a[124+0:127+0], v[vgprValuB_X0_I0+0+0+0+1], v[vgprValuA_X0_I0+12+0+0], a[124:127]
 // Ci += Ar*Bi
/*  mfmaIndex:88  */
v_mfma_f32_16x16x4_f32 a[28+0:31+0], v[vgprValuB_X0_I0+4+0+0], v[vgprValuA_X0_I0+12+0+0], a[28:31]
 // Cr += Ar*Br
/*  mfmaIndex:89  */
v_mfma_f32_16x16x4_f32 a[140+0:143+0], v[vgprValuB_X0_I0+4+0+0], v[vgprValuA_X0_I0+12+0+0+1], a[140:143]
 // Ci += Ai*Br
/*  mfmaIndex:90  */
v_mfma_f32_16x16x4_f32 a[28+0:31+0], v[vgprValuB_X0_I0+4+0+0+1], v141, a[28:31]
 // Cr += -Ai*Bi
/*  mfmaIndex:91  */
v_mfma_f32_16x16x4_f32 a[140+0:143+0], v[vgprValuB_X0_I0+4+0+0+1], v[vgprValuA_X0_I0+12+0+0], a[140:143]
 // Ci += Ar*Bi
/*  mfmaIndex:92  */
	;; [unrolled: 12-line block ×4, first 2 shown]
v_mfma_f32_16x16x4_f32 a[76+0:79+0], v[vgprValuB_X0_I0+16+0+0], v[vgprValuA_X0_I0+12+0+0], a[76:79]
 // Cr += Ar*Br
/*  mfmaIndex:101  */
/* sched write - iter 0 writesPerItem=1 */
s_waitcnt vmcnt(0)                                 // lgkmcnt=-1 vmcnt=0wait for global read before writing to local
_ds_store_b64 v[vgprLocalWriteAddrA], v[vgprG2LA+8:vgprG2LA+8+1] offset:9216 // lwoA_0_0_4_0 = (0*LSCA)*(MT0I+PAD) + (4*LSPA) = 9216
v_mfma_f32_16x16x4_f32 a[188+0:191+0], v[vgprValuB_X0_I0+16+0+0], v[vgprValuA_X0_I0+12+0+0+1], a[188:191]
 // Ci += Ai*Br
/*  mfmaIndex:102  */
_buffer_load_b64 v[vgprG2LA+8:vgprG2LA+8+1], v[vgprGlobalReadOffsetA+0], s[sgprSrdA:sgprSrdA+3], s[sgprScalarGlobalReadOffsetA+3], offen offset:0 // G -> Reg 0_0_4_0
v_mfma_f32_16x16x4_f32 a[76+0:79+0], v[vgprValuB_X0_I0+16+0+0+1], v141, a[76:79]
 // Cr += -Ai*Bi
/*  mfmaIndex:103  */
v_mfma_f32_16x16x4_f32 a[188+0:191+0], v[vgprValuB_X0_I0+16+0+0+1], v[vgprValuA_X0_I0+12+0+0], a[188:191]
 // Ci += Ar*Bi
/*  mfmaIndex:104  */
v_mfma_f32_16x16x4_f32 a[92+0:95+0], v[vgprValuB_X0_I0+20+0+0], v[vgprValuA_X0_I0+12+0+0], a[92:95]
 // Cr += Ar*Br
/*  mfmaIndex:105  */
v_mfma_f32_16x16x4_f32 a[204+0:207+0], v[vgprValuB_X0_I0+20+0+0], v[vgprValuA_X0_I0+12+0+0+1], a[204:207]
 // Ci += Ai*Br
/*  mfmaIndex:106  */
v_mfma_f32_16x16x4_f32 a[92+0:95+0], v[vgprValuB_X0_I0+20+0+0+1], v141, a[92:95]
 // Cr += -Ai*Bi
/*  mfmaIndex:107  */
v_mfma_f32_16x16x4_f32 a[204+0:207+0], v[vgprValuB_X0_I0+20+0+0+1], v[vgprValuA_X0_I0+12+0+0], a[204:207]
 // Ci += Ar*Bi
/*  mfmaIndex:108  */
v_mfma_f32_16x16x4_f32 a[108+0:111+0], v[vgprValuB_X0_I0+24+0+0], v[vgprValuA_X0_I0+12+0+0], a[108:111]
 // Cr += Ar*Br
/*  mfmaIndex:109  */
v_mfma_f32_16x16x4_f32 a[220+0:223+0], v[vgprValuB_X0_I0+24+0+0], v[vgprValuA_X0_I0+12+0+0+1], a[220:223]
 // Ci += Ai*Br
/*  mfmaIndex:110  */
v_mfma_f32_16x16x4_f32 a[108+0:111+0], v[vgprValuB_X0_I0+24+0+0+1], v141, a[108:111]
 // Cr += -Ai*Bi
/*  mfmaIndex:111  */
v_mfma_f32_16x16x4_f32 a[220+0:223+0], v[vgprValuB_X0_I0+24+0+0+1], v[vgprValuA_X0_I0+12+0+0], a[220:223]
 // Ci += Ar*Bi
/* numPrefetchIter=0 */
/* dataAtIterA=-1 numReadsIterA=1 skipReadsIterA=1 readsPerIterA=4 */
/* dataAtIterB=-1 numReadsIterB=1 skipReadsIterB=1 readsPerIterB=7 */


/* iter 1 */

/*  grEndMfmaIndex:6, lwStartMfmaIndex:29, lwEndMfmaIndex:430  */
/*  numMfmaForLR:15, barrierMfmaIndex:432, LocalWritePerMfma:0.055 */
/*  mfmaIndex:112  */
v_add_f32 v141, -v[vgprValuA_X0_I0+0+2+0+1], 0     // Ai=-Ai
v_mfma_f32_16x16x4_f32 a[0+0:3+0], v[vgprValuB_X0_I0+0+2+0], v[vgprValuA_X0_I0+0+2+0], a[0:3]
 // Cr += Ar*Br
/*  mfmaIndex:113  */
v_mfma_f32_16x16x4_f32 a[112+0:115+0], v[vgprValuB_X0_I0+0+2+0], v[vgprValuA_X0_I0+0+2+0+1], a[112:115]
 // Ci += Ai*Br
/*  mfmaIndex:114  */
v_mfma_f32_16x16x4_f32 a[0+0:3+0], v[vgprValuB_X0_I0+0+2+0+1], v141, a[0:3]
 // Cr += -Ai*Bi
/*  mfmaIndex:115  */
v_mfma_f32_16x16x4_f32 a[112+0:115+0], v[vgprValuB_X0_I0+0+2+0+1], v[vgprValuA_X0_I0+0+2+0], a[112:115]
 // Ci += Ar*Bi
/*  mfmaIndex:116  */
v_mfma_f32_16x16x4_f32 a[16+0:19+0], v[vgprValuB_X0_I0+4+2+0], v[vgprValuA_X0_I0+0+2+0], a[16:19]
 // Cr += Ar*Br
/*  mfmaIndex:117  */
v_mfma_f32_16x16x4_f32 a[128+0:131+0], v[vgprValuB_X0_I0+4+2+0], v[vgprValuA_X0_I0+0+2+0+1], a[128:131]
 // Ci += Ai*Br
/*  mfmaIndex:118  */
v_mfma_f32_16x16x4_f32 a[16+0:19+0], v[vgprValuB_X0_I0+4+2+0+1], v141, a[16:19]
 // Cr += -Ai*Bi
/*  mfmaIndex:119  */
/* sched write - iter 1 writesPerItem=1 */
s_waitcnt vmcnt(0)                                 // lgkmcnt=-1 vmcnt=0wait for global read before writing to local
_ds_store_b64 v[vgprLocalWriteAddrA], v[vgprG2LA+10:vgprG2LA+10+1] offset:11520 // lwoA_0_0_5_0 = (0*LSCA)*(MT0I+PAD) + (5*LSPA) = 11520
v_mfma_f32_16x16x4_f32 a[128+0:131+0], v[vgprValuB_X0_I0+4+2+0+1], v[vgprValuA_X0_I0+0+2+0], a[128:131]
 // Ci += Ar*Bi
/*  mfmaIndex:120  */
_buffer_load_b64 v[vgprG2LA+10:vgprG2LA+10+1], v[vgprGlobalReadOffsetA+0], s[sgprSrdA:sgprSrdA+3], s[sgprScalarGlobalReadOffsetA+4], offen offset:0 // G -> Reg 0_0_5_0
v_mfma_f32_16x16x4_f32 a[32+0:35+0], v[vgprValuB_X0_I0+8+2+0], v[vgprValuA_X0_I0+0+2+0], a[32:35]
 // Cr += Ar*Br
/*  mfmaIndex:121  */
v_mfma_f32_16x16x4_f32 a[144+0:147+0], v[vgprValuB_X0_I0+8+2+0], v[vgprValuA_X0_I0+0+2+0+1], a[144:147]
 // Ci += Ai*Br
/*  mfmaIndex:122  */
v_mfma_f32_16x16x4_f32 a[32+0:35+0], v[vgprValuB_X0_I0+8+2+0+1], v141, a[32:35]
 // Cr += -Ai*Bi
/*  mfmaIndex:123  */
v_mfma_f32_16x16x4_f32 a[144+0:147+0], v[vgprValuB_X0_I0+8+2+0+1], v[vgprValuA_X0_I0+0+2+0], a[144:147]
 // Ci += Ar*Bi
/*  mfmaIndex:124  */
v_mfma_f32_16x16x4_f32 a[48+0:51+0], v[vgprValuB_X0_I0+12+2+0], v[vgprValuA_X0_I0+0+2+0], a[48:51]
 // Cr += Ar*Br
/*  mfmaIndex:125  */
v_mfma_f32_16x16x4_f32 a[160+0:163+0], v[vgprValuB_X0_I0+12+2+0], v[vgprValuA_X0_I0+0+2+0+1], a[160:163]
 // Ci += Ai*Br
/*  mfmaIndex:126  */
v_mfma_f32_16x16x4_f32 a[48+0:51+0], v[vgprValuB_X0_I0+12+2+0+1], v141, a[48:51]
 // Cr += -Ai*Bi
/*  mfmaIndex:127  */
v_mfma_f32_16x16x4_f32 a[160+0:163+0], v[vgprValuB_X0_I0+12+2+0+1], v[vgprValuA_X0_I0+0+2+0], a[160:163]
 // Ci += Ar*Bi
/*  mfmaIndex:128  */
	;; [unrolled: 12-line block ×4, first 2 shown]
v_mfma_f32_16x16x4_f32 a[96+0:99+0], v[vgprValuB_X0_I0+24+2+0], v[vgprValuA_X0_I0+0+2+0], a[96:99]
 // Cr += Ar*Br
/*  mfmaIndex:137  */
v_mfma_f32_16x16x4_f32 a[208+0:211+0], v[vgprValuB_X0_I0+24+2+0], v[vgprValuA_X0_I0+0+2+0+1], a[208:211]
 // Ci += Ai*Br
/*  mfmaIndex:138  */
/* sched write - iter 1 writesPerItem=1 */
s_waitcnt vmcnt(0)                                 // lgkmcnt=-1 vmcnt=0wait for global read before writing to local
_ds_store_b64 v[vgprLocalWriteAddrA], v[vgprG2LA+12:vgprG2LA+12+1] offset:13824 // lwoA_0_0_6_0 = (0*LSCA)*(MT0I+PAD) + (6*LSPA) = 13824
v_mfma_f32_16x16x4_f32 a[96+0:99+0], v[vgprValuB_X0_I0+24+2+0+1], v141, a[96:99]
 // Cr += -Ai*Bi
/*  mfmaIndex:139  */
_buffer_load_b64 v[vgprG2LA+12:vgprG2LA+12+1], v[vgprGlobalReadOffsetA+0], s[sgprSrdA:sgprSrdA+3], s[sgprScalarGlobalReadOffsetA+5], offen offset:0 // G -> Reg 0_0_6_0
v_mfma_f32_16x16x4_f32 a[208+0:211+0], v[vgprValuB_X0_I0+24+2+0+1], v[vgprValuA_X0_I0+0+2+0], a[208:211]
 // Ci += Ar*Bi
/*  mfmaIndex:140  */
v_add_f32 v141, -v[vgprValuA_X0_I0+4+2+0+1], 0     // Ai=-Ai
v_mfma_f32_16x16x4_f32 a[4+0:7+0], v[vgprValuB_X0_I0+0+2+0], v[vgprValuA_X0_I0+4+2+0], a[4:7]
 // Cr += Ar*Br
/*  mfmaIndex:141  */
v_mfma_f32_16x16x4_f32 a[116+0:119+0], v[vgprValuB_X0_I0+0+2+0], v[vgprValuA_X0_I0+4+2+0+1], a[116:119]
 // Ci += Ai*Br
/*  mfmaIndex:142  */
v_mfma_f32_16x16x4_f32 a[4+0:7+0], v[vgprValuB_X0_I0+0+2+0+1], v141, a[4:7]
 // Cr += -Ai*Bi
/*  mfmaIndex:143  */
v_mfma_f32_16x16x4_f32 a[116+0:119+0], v[vgprValuB_X0_I0+0+2+0+1], v[vgprValuA_X0_I0+4+2+0], a[116:119]
 // Ci += Ar*Bi
/*  mfmaIndex:144  */
v_mfma_f32_16x16x4_f32 a[20+0:23+0], v[vgprValuB_X0_I0+4+2+0], v[vgprValuA_X0_I0+4+2+0], a[20:23]
 // Cr += Ar*Br
/*  mfmaIndex:145  */
v_mfma_f32_16x16x4_f32 a[132+0:135+0], v[vgprValuB_X0_I0+4+2+0], v[vgprValuA_X0_I0+4+2+0+1], a[132:135]
 // Ci += Ai*Br
/*  mfmaIndex:146  */
v_mfma_f32_16x16x4_f32 a[20+0:23+0], v[vgprValuB_X0_I0+4+2+0+1], v141, a[20:23]
 // Cr += -Ai*Bi
/*  mfmaIndex:147  */
v_mfma_f32_16x16x4_f32 a[132+0:135+0], v[vgprValuB_X0_I0+4+2+0+1], v[vgprValuA_X0_I0+4+2+0], a[132:135]
 // Ci += Ar*Bi
/*  mfmaIndex:148  */
	;; [unrolled: 12-line block ×4, first 2 shown]
/* sched write - iter 1 writesPerItem=1 */
s_waitcnt vmcnt(0)                                 // lgkmcnt=-1 vmcnt=0wait for global read before writing to local
_ds_store_b64 v[vgprLocalWriteAddrA], v[vgprG2LA+14:vgprG2LA+14+1] offset:16128 // lwoA_0_0_7_0 = (0*LSCA)*(MT0I+PAD) + (7*LSPA) = 16128
v_mfma_f32_16x16x4_f32 a[68+0:71+0], v[vgprValuB_X0_I0+16+2+0], v[vgprValuA_X0_I0+4+2+0], a[68:71]
 // Cr += Ar*Br
/*  mfmaIndex:157  */
_buffer_load_b64 v[vgprG2LA+14:vgprG2LA+14+1], v[vgprGlobalReadOffsetA+0], s[sgprSrdA:sgprSrdA+3], s[sgprScalarGlobalReadOffsetA+6], offen offset:0 // G -> Reg 0_0_7_0
v_mfma_f32_16x16x4_f32 a[180+0:183+0], v[vgprValuB_X0_I0+16+2+0], v[vgprValuA_X0_I0+4+2+0+1], a[180:183]
 // Ci += Ai*Br
/*  mfmaIndex:158  */
v_mfma_f32_16x16x4_f32 a[68+0:71+0], v[vgprValuB_X0_I0+16+2+0+1], v141, a[68:71]
 // Cr += -Ai*Bi
/*  mfmaIndex:159  */
v_mfma_f32_16x16x4_f32 a[180+0:183+0], v[vgprValuB_X0_I0+16+2+0+1], v[vgprValuA_X0_I0+4+2+0], a[180:183]
 // Ci += Ar*Bi
/*  mfmaIndex:160  */
v_mfma_f32_16x16x4_f32 a[84+0:87+0], v[vgprValuB_X0_I0+20+2+0], v[vgprValuA_X0_I0+4+2+0], a[84:87]
 // Cr += Ar*Br
/*  mfmaIndex:161  */
v_mfma_f32_16x16x4_f32 a[196+0:199+0], v[vgprValuB_X0_I0+20+2+0], v[vgprValuA_X0_I0+4+2+0+1], a[196:199]
 // Ci += Ai*Br
/*  mfmaIndex:162  */
v_mfma_f32_16x16x4_f32 a[84+0:87+0], v[vgprValuB_X0_I0+20+2+0+1], v141, a[84:87]
 // Cr += -Ai*Bi
/*  mfmaIndex:163  */
v_mfma_f32_16x16x4_f32 a[196+0:199+0], v[vgprValuB_X0_I0+20+2+0+1], v[vgprValuA_X0_I0+4+2+0], a[196:199]
 // Ci += Ar*Bi
/*  mfmaIndex:164  */
v_mfma_f32_16x16x4_f32 a[100+0:103+0], v[vgprValuB_X0_I0+24+2+0], v[vgprValuA_X0_I0+4+2+0], a[100:103]
 // Cr += Ar*Br
/*  mfmaIndex:165  */
v_mfma_f32_16x16x4_f32 a[212+0:215+0], v[vgprValuB_X0_I0+24+2+0], v[vgprValuA_X0_I0+4+2+0+1], a[212:215]
 // Ci += Ai*Br
/*  mfmaIndex:166  */
v_mfma_f32_16x16x4_f32 a[100+0:103+0], v[vgprValuB_X0_I0+24+2+0+1], v141, a[100:103]
 // Cr += -Ai*Bi
/*  mfmaIndex:167  */
v_mfma_f32_16x16x4_f32 a[212+0:215+0], v[vgprValuB_X0_I0+24+2+0+1], v[vgprValuA_X0_I0+4+2+0], a[212:215]
 // Ci += Ar*Bi
/*  mfmaIndex:168  */
v_add_f32 v141, -v[vgprValuA_X0_I0+8+2+0+1], 0     // Ai=-Ai
v_mfma_f32_16x16x4_f32 a[8+0:11+0], v[vgprValuB_X0_I0+0+2+0], v[vgprValuA_X0_I0+8+2+0], a[8:11]
 // Cr += Ar*Br
/*  mfmaIndex:169  */
v_mfma_f32_16x16x4_f32 a[120+0:123+0], v[vgprValuB_X0_I0+0+2+0], v[vgprValuA_X0_I0+8+2+0+1], a[120:123]
 // Ci += Ai*Br
/*  mfmaIndex:170  */
v_mfma_f32_16x16x4_f32 a[8+0:11+0], v[vgprValuB_X0_I0+0+2+0+1], v141, a[8:11]
 // Cr += -Ai*Bi
/*  mfmaIndex:171  */
v_mfma_f32_16x16x4_f32 a[120+0:123+0], v[vgprValuB_X0_I0+0+2+0+1], v[vgprValuA_X0_I0+8+2+0], a[120:123]
 // Ci += Ar*Bi
/*  mfmaIndex:172  */
v_mfma_f32_16x16x4_f32 a[24+0:27+0], v[vgprValuB_X0_I0+4+2+0], v[vgprValuA_X0_I0+8+2+0], a[24:27]
 // Cr += Ar*Br
/*  mfmaIndex:173  */
v_mfma_f32_16x16x4_f32 a[136+0:139+0], v[vgprValuB_X0_I0+4+2+0], v[vgprValuA_X0_I0+8+2+0+1], a[136:139]
 // Ci += Ai*Br
/*  mfmaIndex:174  */
/* sched write - iter 1 writesPerItem=1 */
s_waitcnt vmcnt(0)                                 // lgkmcnt=-1 vmcnt=0wait for global read before writing to local
_ds_store_b64 v[vgprLocalWriteAddrA], v[vgprG2LA+16:vgprG2LA+16+1] offset:18432 // lwoA_0_0_8_0 = (0*LSCA)*(MT0I+PAD) + (8*LSPA) = 18432
v_mfma_f32_16x16x4_f32 a[24+0:27+0], v[vgprValuB_X0_I0+4+2+0+1], v141, a[24:27]
 // Cr += -Ai*Bi
/*  mfmaIndex:175  */
_buffer_load_b64 v[vgprG2LA+16:vgprG2LA+16+1], v[vgprGlobalReadOffsetA+0], s[sgprSrdA:sgprSrdA+3], s[sgprScalarGlobalReadOffsetA+7], offen offset:0 // G -> Reg 0_0_8_0
v_mfma_f32_16x16x4_f32 a[136+0:139+0], v[vgprValuB_X0_I0+4+2+0+1], v[vgprValuA_X0_I0+8+2+0], a[136:139]
 // Ci += Ar*Bi
/*  mfmaIndex:176  */
v_mfma_f32_16x16x4_f32 a[40+0:43+0], v[vgprValuB_X0_I0+8+2+0], v[vgprValuA_X0_I0+8+2+0], a[40:43]
 // Cr += Ar*Br
/*  mfmaIndex:177  */
v_mfma_f32_16x16x4_f32 a[152+0:155+0], v[vgprValuB_X0_I0+8+2+0], v[vgprValuA_X0_I0+8+2+0+1], a[152:155]
 // Ci += Ai*Br
/*  mfmaIndex:178  */
v_mfma_f32_16x16x4_f32 a[40+0:43+0], v[vgprValuB_X0_I0+8+2+0+1], v141, a[40:43]
 // Cr += -Ai*Bi
/*  mfmaIndex:179  */
v_mfma_f32_16x16x4_f32 a[152+0:155+0], v[vgprValuB_X0_I0+8+2+0+1], v[vgprValuA_X0_I0+8+2+0], a[152:155]
 // Ci += Ar*Bi
/*  mfmaIndex:180  */
v_mfma_f32_16x16x4_f32 a[56+0:59+0], v[vgprValuB_X0_I0+12+2+0], v[vgprValuA_X0_I0+8+2+0], a[56:59]
 // Cr += Ar*Br
/*  mfmaIndex:181  */
v_mfma_f32_16x16x4_f32 a[168+0:171+0], v[vgprValuB_X0_I0+12+2+0], v[vgprValuA_X0_I0+8+2+0+1], a[168:171]
 // Ci += Ai*Br
/*  mfmaIndex:182  */
v_mfma_f32_16x16x4_f32 a[56+0:59+0], v[vgprValuB_X0_I0+12+2+0+1], v141, a[56:59]
 // Cr += -Ai*Bi
/*  mfmaIndex:183  */
	;; [unrolled: 12-line block ×4, first 2 shown]
v_mfma_f32_16x16x4_f32 a[200+0:203+0], v[vgprValuB_X0_I0+20+2+0+1], v[vgprValuA_X0_I0+8+2+0], a[200:203]
 // Ci += Ar*Bi
/*  mfmaIndex:192  */
/* sched write - iter 1 writesPerItem=1 */
s_waitcnt vmcnt(0)                                 // lgkmcnt=-1 vmcnt=0wait for global read before writing to local
_ds_store_b64 v[vgprLocalWriteAddrA], v[vgprG2LA+18:vgprG2LA+18+1] offset:20736 // lwoA_0_0_9_0 = (0*LSCA)*(MT0I+PAD) + (9*LSPA) = 20736
v_mfma_f32_16x16x4_f32 a[104+0:107+0], v[vgprValuB_X0_I0+24+2+0], v[vgprValuA_X0_I0+8+2+0], a[104:107]
 // Cr += Ar*Br
/*  mfmaIndex:193  */
_buffer_load_b64 v[vgprG2LA+18:vgprG2LA+18+1], v[vgprGlobalReadOffsetA+0], s[sgprSrdA:sgprSrdA+3], s[sgprScalarGlobalReadOffsetA+8], offen offset:0 // G -> Reg 0_0_9_0
v_mfma_f32_16x16x4_f32 a[216+0:219+0], v[vgprValuB_X0_I0+24+2+0], v[vgprValuA_X0_I0+8+2+0+1], a[216:219]
 // Ci += Ai*Br
/*  mfmaIndex:194  */
v_mfma_f32_16x16x4_f32 a[104+0:107+0], v[vgprValuB_X0_I0+24+2+0+1], v141, a[104:107]
 // Cr += -Ai*Bi
/*  mfmaIndex:195  */
v_mfma_f32_16x16x4_f32 a[216+0:219+0], v[vgprValuB_X0_I0+24+2+0+1], v[vgprValuA_X0_I0+8+2+0], a[216:219]
 // Ci += Ar*Bi
/*  mfmaIndex:196  */
v_add_f32 v141, -v[vgprValuA_X0_I0+12+2+0+1], 0    // Ai=-Ai
v_mfma_f32_16x16x4_f32 a[12+0:15+0], v[vgprValuB_X0_I0+0+2+0], v[vgprValuA_X0_I0+12+2+0], a[12:15]
 // Cr += Ar*Br
/*  mfmaIndex:197  */
v_mfma_f32_16x16x4_f32 a[124+0:127+0], v[vgprValuB_X0_I0+0+2+0], v[vgprValuA_X0_I0+12+2+0+1], a[124:127]
 // Ci += Ai*Br
/*  mfmaIndex:198  */
v_mfma_f32_16x16x4_f32 a[12+0:15+0], v[vgprValuB_X0_I0+0+2+0+1], v141, a[12:15]
 // Cr += -Ai*Bi
/*  mfmaIndex:199  */
v_mfma_f32_16x16x4_f32 a[124+0:127+0], v[vgprValuB_X0_I0+0+2+0+1], v[vgprValuA_X0_I0+12+2+0], a[124:127]
 // Ci += Ar*Bi
/*  mfmaIndex:200  */
v_mfma_f32_16x16x4_f32 a[28+0:31+0], v[vgprValuB_X0_I0+4+2+0], v[vgprValuA_X0_I0+12+2+0], a[28:31]
 // Cr += Ar*Br
/*  mfmaIndex:201  */
v_mfma_f32_16x16x4_f32 a[140+0:143+0], v[vgprValuB_X0_I0+4+2+0], v[vgprValuA_X0_I0+12+2+0+1], a[140:143]
 // Ci += Ai*Br
/*  mfmaIndex:202  */
v_mfma_f32_16x16x4_f32 a[28+0:31+0], v[vgprValuB_X0_I0+4+2+0+1], v141, a[28:31]
 // Cr += -Ai*Bi
/*  mfmaIndex:203  */
v_mfma_f32_16x16x4_f32 a[140+0:143+0], v[vgprValuB_X0_I0+4+2+0+1], v[vgprValuA_X0_I0+12+2+0], a[140:143]
 // Ci += Ar*Bi
/*  mfmaIndex:204  */
	;; [unrolled: 12-line block ×3, first 2 shown]
v_mfma_f32_16x16x4_f32 a[60+0:63+0], v[vgprValuB_X0_I0+12+2+0], v[vgprValuA_X0_I0+12+2+0], a[60:63]
 // Cr += Ar*Br
/*  mfmaIndex:209  */
v_mfma_f32_16x16x4_f32 a[172+0:175+0], v[vgprValuB_X0_I0+12+2+0], v[vgprValuA_X0_I0+12+2+0+1], a[172:175]
 // Ci += Ai*Br
/*  mfmaIndex:210  */
/* sched write - iter 1 writesPerItem=1 */
s_waitcnt vmcnt(0)                                 // lgkmcnt=-1 vmcnt=0wait for global read before writing to local
_ds_store_b64 v[vgprLocalWriteAddrA], v[vgprG2LA+20:vgprG2LA+20+1] offset:23040 // lwoA_0_0_10_0 = (0*LSCA)*(MT0I+PAD) + (10*LSPA) = 23040
v_mfma_f32_16x16x4_f32 a[60+0:63+0], v[vgprValuB_X0_I0+12+2+0+1], v141, a[60:63]
 // Cr += -Ai*Bi
/*  mfmaIndex:211  */
_buffer_load_b64 v[vgprG2LA+20:vgprG2LA+20+1], v[vgprGlobalReadOffsetA+0], s[sgprSrdA:sgprSrdA+3], s[sgprScalarGlobalReadOffsetA+9], offen offset:0 // G -> Reg 0_0_10_0
v_mfma_f32_16x16x4_f32 a[172+0:175+0], v[vgprValuB_X0_I0+12+2+0+1], v[vgprValuA_X0_I0+12+2+0], a[172:175]
 // Ci += Ar*Bi
/*  mfmaIndex:212  */
v_mfma_f32_16x16x4_f32 a[76+0:79+0], v[vgprValuB_X0_I0+16+2+0], v[vgprValuA_X0_I0+12+2+0], a[76:79]
 // Cr += Ar*Br
/*  mfmaIndex:213  */
v_mfma_f32_16x16x4_f32 a[188+0:191+0], v[vgprValuB_X0_I0+16+2+0], v[vgprValuA_X0_I0+12+2+0+1], a[188:191]
 // Ci += Ai*Br
/*  mfmaIndex:214  */
v_mfma_f32_16x16x4_f32 a[76+0:79+0], v[vgprValuB_X0_I0+16+2+0+1], v141, a[76:79]
 // Cr += -Ai*Bi
/*  mfmaIndex:215  */
v_mfma_f32_16x16x4_f32 a[188+0:191+0], v[vgprValuB_X0_I0+16+2+0+1], v[vgprValuA_X0_I0+12+2+0], a[188:191]
 // Ci += Ar*Bi
/*  mfmaIndex:216  */
v_mfma_f32_16x16x4_f32 a[92+0:95+0], v[vgprValuB_X0_I0+20+2+0], v[vgprValuA_X0_I0+12+2+0], a[92:95]
 // Cr += Ar*Br
/*  mfmaIndex:217  */
v_mfma_f32_16x16x4_f32 a[204+0:207+0], v[vgprValuB_X0_I0+20+2+0], v[vgprValuA_X0_I0+12+2+0+1], a[204:207]
 // Ci += Ai*Br
/*  mfmaIndex:218  */
v_mfma_f32_16x16x4_f32 a[92+0:95+0], v[vgprValuB_X0_I0+20+2+0+1], v141, a[92:95]
 // Cr += -Ai*Bi
/*  mfmaIndex:219  */
	;; [unrolled: 12-line block ×3, first 2 shown]
v_mfma_f32_16x16x4_f32 a[220+0:223+0], v[vgprValuB_X0_I0+24+2+0+1], v[vgprValuA_X0_I0+12+2+0], a[220:223]
 // Ci += Ar*Bi


/* iter 2 (reset local read pointers iteration)  (swap local read pointers iteration)  */

/*  grEndMfmaIndex:6, lwStartMfmaIndex:29, lwEndMfmaIndex:430  */
/*  numMfmaForLR:15, barrierMfmaIndex:432, LocalWritePerMfma:0.055 */
/*  mfmaIndex:224  */
v_add_f32 v141, -v[vgprValuA_X2_I0+0+0+0+1], 0     // Ai=-Ai
v_mfma_f32_16x16x4_f32 a[0+0:3+0], v[vgprValuB_X2_I0+0+0+0], v[vgprValuA_X2_I0+0+0+0], a[0:3]
 // Cr += Ar*Br
/*  mfmaIndex:225  */
v_mfma_f32_16x16x4_f32 a[112+0:115+0], v[vgprValuB_X2_I0+0+0+0], v[vgprValuA_X2_I0+0+0+0+1], a[112:115]
 // Ci += Ai*Br
/*  mfmaIndex:226  */
v_mfma_f32_16x16x4_f32 a[0+0:3+0], v[vgprValuB_X2_I0+0+0+0+1], v141, a[0:3]
 // Cr += -Ai*Bi
/*  mfmaIndex:227  */
v_mfma_f32_16x16x4_f32 a[112+0:115+0], v[vgprValuB_X2_I0+0+0+0+1], v[vgprValuA_X2_I0+0+0+0], a[112:115]
 // Ci += Ar*Bi
/*  mfmaIndex:228  */
v_mfma_f32_16x16x4_f32 a[16+0:19+0], v[vgprValuB_X2_I0+4+0+0], v[vgprValuA_X2_I0+0+0+0], a[16:19]
 // Cr += Ar*Br
/*  mfmaIndex:229  */
/* sched write - iter 2 writesPerItem=1 */
s_waitcnt vmcnt(0)                                 // lgkmcnt=-1 vmcnt=0wait for global read before writing to local
_ds_store_b64 v[vgprLocalWriteAddrA], v[vgprG2LA+22:vgprG2LA+22+1] offset:25344 // lwoA_0_0_11_0 = (0*LSCA)*(MT0I+PAD) + (11*LSPA) = 25344
v_mfma_f32_16x16x4_f32 a[128+0:131+0], v[vgprValuB_X2_I0+4+0+0], v[vgprValuA_X2_I0+0+0+0+1], a[128:131]
 // Ci += Ai*Br
/*  mfmaIndex:230  */
_buffer_load_b64 v[vgprG2LA+22:vgprG2LA+22+1], v[vgprGlobalReadOffsetA+0], s[sgprSrdA:sgprSrdA+3], s[sgprScalarGlobalReadOffsetA+10], offen offset:0 // G -> Reg 0_0_11_0
v_mfma_f32_16x16x4_f32 a[16+0:19+0], v[vgprValuB_X2_I0+4+0+0+1], v141, a[16:19]
 // Cr += -Ai*Bi
/*  mfmaIndex:231  */
v_mfma_f32_16x16x4_f32 a[128+0:131+0], v[vgprValuB_X2_I0+4+0+0+1], v[vgprValuA_X2_I0+0+0+0], a[128:131]
 // Ci += Ar*Bi
/*  mfmaIndex:232  */
v_mfma_f32_16x16x4_f32 a[32+0:35+0], v[vgprValuB_X2_I0+8+0+0], v[vgprValuA_X2_I0+0+0+0], a[32:35]
 // Cr += Ar*Br
/*  mfmaIndex:233  */
v_mfma_f32_16x16x4_f32 a[144+0:147+0], v[vgprValuB_X2_I0+8+0+0], v[vgprValuA_X2_I0+0+0+0+1], a[144:147]
 // Ci += Ai*Br
/*  mfmaIndex:234  */
v_mfma_f32_16x16x4_f32 a[32+0:35+0], v[vgprValuB_X2_I0+8+0+0+1], v141, a[32:35]
 // Cr += -Ai*Bi
/*  mfmaIndex:235  */
v_mfma_f32_16x16x4_f32 a[144+0:147+0], v[vgprValuB_X2_I0+8+0+0+1], v[vgprValuA_X2_I0+0+0+0], a[144:147]
 // Ci += Ar*Bi
/*  mfmaIndex:236  */
v_mfma_f32_16x16x4_f32 a[48+0:51+0], v[vgprValuB_X2_I0+12+0+0], v[vgprValuA_X2_I0+0+0+0], a[48:51]
 // Cr += Ar*Br
/*  mfmaIndex:237  */
v_mfma_f32_16x16x4_f32 a[160+0:163+0], v[vgprValuB_X2_I0+12+0+0], v[vgprValuA_X2_I0+0+0+0+1], a[160:163]
 // Ci += Ai*Br
/*  mfmaIndex:238  */
	;; [unrolled: 12-line block ×4, first 2 shown]
v_mfma_f32_16x16x4_f32 a[80+0:83+0], v[vgprValuB_X2_I0+20+0+0+1], v141, a[80:83]
 // Cr += -Ai*Bi
/*  mfmaIndex:247  */
/* sched write - iter 2 writesPerItem=1 */
s_waitcnt vmcnt(0)                                 // lgkmcnt=-1 vmcnt=0wait for global read before writing to local
_ds_store_b64 v[vgprLocalWriteAddrA], v[vgprG2LA+24:vgprG2LA+24+1] offset:27648 // lwoA_0_0_12_0 = (0*LSCA)*(MT0I+PAD) + (12*LSPA) = 27648
v_mfma_f32_16x16x4_f32 a[192+0:195+0], v[vgprValuB_X2_I0+20+0+0+1], v[vgprValuA_X2_I0+0+0+0], a[192:195]
 // Ci += Ar*Bi
/*  mfmaIndex:248  */
_buffer_load_b64 v[vgprG2LA+24:vgprG2LA+24+1], v[vgprGlobalReadOffsetA+0], s[sgprSrdA:sgprSrdA+3], s[sgprScalarGlobalReadOffsetA+11], offen offset:0 // G -> Reg 0_0_12_0
v_mfma_f32_16x16x4_f32 a[96+0:99+0], v[vgprValuB_X2_I0+24+0+0], v[vgprValuA_X2_I0+0+0+0], a[96:99]
 // Cr += Ar*Br
/*  mfmaIndex:249  */
v_mfma_f32_16x16x4_f32 a[208+0:211+0], v[vgprValuB_X2_I0+24+0+0], v[vgprValuA_X2_I0+0+0+0+1], a[208:211]
 // Ci += Ai*Br
/*  mfmaIndex:250  */
v_mfma_f32_16x16x4_f32 a[96+0:99+0], v[vgprValuB_X2_I0+24+0+0+1], v141, a[96:99]
 // Cr += -Ai*Bi
/*  mfmaIndex:251  */
v_mfma_f32_16x16x4_f32 a[208+0:211+0], v[vgprValuB_X2_I0+24+0+0+1], v[vgprValuA_X2_I0+0+0+0], a[208:211]
 // Ci += Ar*Bi
/*  mfmaIndex:252  */
v_add_f32 v141, -v[vgprValuA_X2_I0+4+0+0+1], 0     // Ai=-Ai
v_mfma_f32_16x16x4_f32 a[4+0:7+0], v[vgprValuB_X2_I0+0+0+0], v[vgprValuA_X2_I0+4+0+0], a[4:7]
 // Cr += Ar*Br
/*  mfmaIndex:253  */
v_mfma_f32_16x16x4_f32 a[116+0:119+0], v[vgprValuB_X2_I0+0+0+0], v[vgprValuA_X2_I0+4+0+0+1], a[116:119]
 // Ci += Ai*Br
/*  mfmaIndex:254  */
v_mfma_f32_16x16x4_f32 a[4+0:7+0], v[vgprValuB_X2_I0+0+0+0+1], v141, a[4:7]
 // Cr += -Ai*Bi
/*  mfmaIndex:255  */
v_mfma_f32_16x16x4_f32 a[116+0:119+0], v[vgprValuB_X2_I0+0+0+0+1], v[vgprValuA_X2_I0+4+0+0], a[116:119]
 // Ci += Ar*Bi
/*  mfmaIndex:256  */
v_mfma_f32_16x16x4_f32 a[20+0:23+0], v[vgprValuB_X2_I0+4+0+0], v[vgprValuA_X2_I0+4+0+0], a[20:23]
 // Cr += Ar*Br
/*  mfmaIndex:257  */
v_mfma_f32_16x16x4_f32 a[132+0:135+0], v[vgprValuB_X2_I0+4+0+0], v[vgprValuA_X2_I0+4+0+0+1], a[132:135]
 // Ci += Ai*Br
/*  mfmaIndex:258  */
v_mfma_f32_16x16x4_f32 a[20+0:23+0], v[vgprValuB_X2_I0+4+0+0+1], v141, a[20:23]
 // Cr += -Ai*Bi
/*  mfmaIndex:259  */
v_mfma_f32_16x16x4_f32 a[132+0:135+0], v[vgprValuB_X2_I0+4+0+0+1], v[vgprValuA_X2_I0+4+0+0], a[132:135]
 // Ci += Ar*Bi
/*  mfmaIndex:260  */
v_mfma_f32_16x16x4_f32 a[36+0:39+0], v[vgprValuB_X2_I0+8+0+0], v[vgprValuA_X2_I0+4+0+0], a[36:39]
 // Cr += Ar*Br
/*  mfmaIndex:261  */
v_mfma_f32_16x16x4_f32 a[148+0:151+0], v[vgprValuB_X2_I0+8+0+0], v[vgprValuA_X2_I0+4+0+0+1], a[148:151]
 // Ci += Ai*Br
/*  mfmaIndex:262  */
v_mfma_f32_16x16x4_f32 a[36+0:39+0], v[vgprValuB_X2_I0+8+0+0+1], v141, a[36:39]
 // Cr += -Ai*Bi
/*  mfmaIndex:263  */
v_mfma_f32_16x16x4_f32 a[148+0:151+0], v[vgprValuB_X2_I0+8+0+0+1], v[vgprValuA_X2_I0+4+0+0], a[148:151]
 // Ci += Ar*Bi
/*  mfmaIndex:264  */
v_mfma_f32_16x16x4_f32 a[52+0:55+0], v[vgprValuB_X2_I0+12+0+0], v[vgprValuA_X2_I0+4+0+0], a[52:55]
 // Cr += Ar*Br
/*  mfmaIndex:265  */
/* sched write - iter 2 writesPerItem=1 */
s_waitcnt vmcnt(0)                                 // lgkmcnt=-1 vmcnt=0wait for global read before writing to local
_ds_store_b64 v[vgprLocalWriteAddrA], v[vgprG2LA+26:vgprG2LA+26+1] offset:29952 // lwoA_0_0_13_0 = (0*LSCA)*(MT0I+PAD) + (13*LSPA) = 29952
v_mfma_f32_16x16x4_f32 a[164+0:167+0], v[vgprValuB_X2_I0+12+0+0], v[vgprValuA_X2_I0+4+0+0+1], a[164:167]
 // Ci += Ai*Br
/*  mfmaIndex:266  */
_buffer_load_b64 v[vgprG2LA+26:vgprG2LA+26+1], v[vgprGlobalReadOffsetA+0], s[sgprSrdA:sgprSrdA+3], s[sgprScalarGlobalReadOffsetA+12], offen offset:0 // G -> Reg 0_0_13_0
v_mfma_f32_16x16x4_f32 a[52+0:55+0], v[vgprValuB_X2_I0+12+0+0+1], v141, a[52:55]
 // Cr += -Ai*Bi
/*  mfmaIndex:267  */
v_mfma_f32_16x16x4_f32 a[164+0:167+0], v[vgprValuB_X2_I0+12+0+0+1], v[vgprValuA_X2_I0+4+0+0], a[164:167]
 // Ci += Ar*Bi
/*  mfmaIndex:268  */
v_mfma_f32_16x16x4_f32 a[68+0:71+0], v[vgprValuB_X2_I0+16+0+0], v[vgprValuA_X2_I0+4+0+0], a[68:71]
 // Cr += Ar*Br
/*  mfmaIndex:269  */
v_mfma_f32_16x16x4_f32 a[180+0:183+0], v[vgprValuB_X2_I0+16+0+0], v[vgprValuA_X2_I0+4+0+0+1], a[180:183]
 // Ci += Ai*Br
/*  mfmaIndex:270  */
v_mfma_f32_16x16x4_f32 a[68+0:71+0], v[vgprValuB_X2_I0+16+0+0+1], v141, a[68:71]
 // Cr += -Ai*Bi
/*  mfmaIndex:271  */
v_mfma_f32_16x16x4_f32 a[180+0:183+0], v[vgprValuB_X2_I0+16+0+0+1], v[vgprValuA_X2_I0+4+0+0], a[180:183]
 // Ci += Ar*Bi
/*  mfmaIndex:272  */
v_mfma_f32_16x16x4_f32 a[84+0:87+0], v[vgprValuB_X2_I0+20+0+0], v[vgprValuA_X2_I0+4+0+0], a[84:87]
 // Cr += Ar*Br
/*  mfmaIndex:273  */
v_mfma_f32_16x16x4_f32 a[196+0:199+0], v[vgprValuB_X2_I0+20+0+0], v[vgprValuA_X2_I0+4+0+0+1], a[196:199]
 // Ci += Ai*Br
/*  mfmaIndex:274  */
	;; [unrolled: 12-line block ×3, first 2 shown]
v_mfma_f32_16x16x4_f32 a[100+0:103+0], v[vgprValuB_X2_I0+24+0+0+1], v141, a[100:103]
 // Cr += -Ai*Bi
/*  mfmaIndex:279  */
v_mfma_f32_16x16x4_f32 a[212+0:215+0], v[vgprValuB_X2_I0+24+0+0+1], v[vgprValuA_X2_I0+4+0+0], a[212:215]
 // Ci += Ar*Bi
/*  mfmaIndex:280  */
v_add_f32 v141, -v[vgprValuA_X2_I0+8+0+0+1], 0     // Ai=-Ai
v_mfma_f32_16x16x4_f32 a[8+0:11+0], v[vgprValuB_X2_I0+0+0+0], v[vgprValuA_X2_I0+8+0+0], a[8:11]
 // Cr += Ar*Br
/*  mfmaIndex:281  */
v_mfma_f32_16x16x4_f32 a[120+0:123+0], v[vgprValuB_X2_I0+0+0+0], v[vgprValuA_X2_I0+8+0+0+1], a[120:123]
 // Ci += Ai*Br
/*  mfmaIndex:282  */
v_mfma_f32_16x16x4_f32 a[8+0:11+0], v[vgprValuB_X2_I0+0+0+0+1], v141, a[8:11]
 // Cr += -Ai*Bi
/*  mfmaIndex:283  */
/* sched write - iter 2 writesPerItem=1 */
s_waitcnt vmcnt(0)                                 // lgkmcnt=-1 vmcnt=0wait for global read before writing to local
_ds_store_b64 v[vgprLocalWriteAddrA], v[vgprG2LA+28:vgprG2LA+28+1] offset:32256 // lwoA_0_0_14_0 = (0*LSCA)*(MT0I+PAD) + (14*LSPA) = 32256
v_mfma_f32_16x16x4_f32 a[120+0:123+0], v[vgprValuB_X2_I0+0+0+0+1], v[vgprValuA_X2_I0+8+0+0], a[120:123]
 // Ci += Ar*Bi
/*  mfmaIndex:284  */
_buffer_load_b64 v[vgprG2LA+28:vgprG2LA+28+1], v[vgprGlobalReadOffsetA+0], s[sgprSrdA:sgprSrdA+3], s[sgprScalarGlobalReadOffsetA+13], offen offset:0 // G -> Reg 0_0_14_0
v_mfma_f32_16x16x4_f32 a[24+0:27+0], v[vgprValuB_X2_I0+4+0+0], v[vgprValuA_X2_I0+8+0+0], a[24:27]
 // Cr += Ar*Br
/*  mfmaIndex:285  */
v_mfma_f32_16x16x4_f32 a[136+0:139+0], v[vgprValuB_X2_I0+4+0+0], v[vgprValuA_X2_I0+8+0+0+1], a[136:139]
 // Ci += Ai*Br
/*  mfmaIndex:286  */
v_mfma_f32_16x16x4_f32 a[24+0:27+0], v[vgprValuB_X2_I0+4+0+0+1], v141, a[24:27]
 // Cr += -Ai*Bi
/*  mfmaIndex:287  */
v_mfma_f32_16x16x4_f32 a[136+0:139+0], v[vgprValuB_X2_I0+4+0+0+1], v[vgprValuA_X2_I0+8+0+0], a[136:139]
 // Ci += Ar*Bi
/*  mfmaIndex:288  */
v_mfma_f32_16x16x4_f32 a[40+0:43+0], v[vgprValuB_X2_I0+8+0+0], v[vgprValuA_X2_I0+8+0+0], a[40:43]
 // Cr += Ar*Br
/*  mfmaIndex:289  */
v_mfma_f32_16x16x4_f32 a[152+0:155+0], v[vgprValuB_X2_I0+8+0+0], v[vgprValuA_X2_I0+8+0+0+1], a[152:155]
 // Ci += Ai*Br
/*  mfmaIndex:290  */
v_mfma_f32_16x16x4_f32 a[40+0:43+0], v[vgprValuB_X2_I0+8+0+0+1], v141, a[40:43]
 // Cr += -Ai*Bi
/*  mfmaIndex:291  */
v_mfma_f32_16x16x4_f32 a[152+0:155+0], v[vgprValuB_X2_I0+8+0+0+1], v[vgprValuA_X2_I0+8+0+0], a[152:155]
 // Ci += Ar*Bi
/*  mfmaIndex:292  */
	;; [unrolled: 12-line block ×4, first 2 shown]
v_mfma_f32_16x16x4_f32 a[88+0:91+0], v[vgprValuB_X2_I0+20+0+0], v[vgprValuA_X2_I0+8+0+0], a[88:91]
 // Cr += Ar*Br
/*  mfmaIndex:301  */
/* sched write - iter 2 writesPerItem=1 */
s_waitcnt vmcnt(0)                                 // lgkmcnt=-1 vmcnt=0wait for global read before writing to local
_ds_store_b64 v[vgprLocalWriteAddrA], v[vgprG2LA+30:vgprG2LA+30+1] offset:34560 // lwoA_0_0_15_0 = (0*LSCA)*(MT0I+PAD) + (15*LSPA) = 34560
v_mfma_f32_16x16x4_f32 a[200+0:203+0], v[vgprValuB_X2_I0+20+0+0], v[vgprValuA_X2_I0+8+0+0+1], a[200:203]
 // Ci += Ai*Br
/*  mfmaIndex:302  */
_buffer_load_b64 v[vgprG2LA+30:vgprG2LA+30+1], v[vgprGlobalReadOffsetA+0], s[sgprSrdA:sgprSrdA+3], s[sgprScalarGlobalReadOffsetA+14], offen offset:0 // G -> Reg 0_0_15_0
v_mfma_f32_16x16x4_f32 a[88+0:91+0], v[vgprValuB_X2_I0+20+0+0+1], v141, a[88:91]
 // Cr += -Ai*Bi
/*  mfmaIndex:303  */
v_mfma_f32_16x16x4_f32 a[200+0:203+0], v[vgprValuB_X2_I0+20+0+0+1], v[vgprValuA_X2_I0+8+0+0], a[200:203]
 // Ci += Ar*Bi
/*  mfmaIndex:304  */
v_mfma_f32_16x16x4_f32 a[104+0:107+0], v[vgprValuB_X2_I0+24+0+0], v[vgprValuA_X2_I0+8+0+0], a[104:107]
 // Cr += Ar*Br
/*  mfmaIndex:305  */
v_mfma_f32_16x16x4_f32 a[216+0:219+0], v[vgprValuB_X2_I0+24+0+0], v[vgprValuA_X2_I0+8+0+0+1], a[216:219]
 // Ci += Ai*Br
/*  mfmaIndex:306  */
v_mfma_f32_16x16x4_f32 a[104+0:107+0], v[vgprValuB_X2_I0+24+0+0+1], v141, a[104:107]
 // Cr += -Ai*Bi
/*  mfmaIndex:307  */
v_mfma_f32_16x16x4_f32 a[216+0:219+0], v[vgprValuB_X2_I0+24+0+0+1], v[vgprValuA_X2_I0+8+0+0], a[216:219]
 // Ci += Ar*Bi
/*  mfmaIndex:308  */
v_add_f32 v141, -v[vgprValuA_X2_I0+12+0+0+1], 0    // Ai=-Ai
v_mfma_f32_16x16x4_f32 a[12+0:15+0], v[vgprValuB_X2_I0+0+0+0], v[vgprValuA_X2_I0+12+0+0], a[12:15]
 // Cr += Ar*Br
/*  mfmaIndex:309  */
v_mfma_f32_16x16x4_f32 a[124+0:127+0], v[vgprValuB_X2_I0+0+0+0], v[vgprValuA_X2_I0+12+0+0+1], a[124:127]
 // Ci += Ai*Br
/*  mfmaIndex:310  */
v_mfma_f32_16x16x4_f32 a[12+0:15+0], v[vgprValuB_X2_I0+0+0+0+1], v141, a[12:15]
 // Cr += -Ai*Bi
/*  mfmaIndex:311  */
v_mfma_f32_16x16x4_f32 a[124+0:127+0], v[vgprValuB_X2_I0+0+0+0+1], v[vgprValuA_X2_I0+12+0+0], a[124:127]
 // Ci += Ar*Bi
/*  mfmaIndex:312  */
v_mfma_f32_16x16x4_f32 a[28+0:31+0], v[vgprValuB_X2_I0+4+0+0], v[vgprValuA_X2_I0+12+0+0], a[28:31]
 // Cr += Ar*Br
/*  mfmaIndex:313  */
v_mfma_f32_16x16x4_f32 a[140+0:143+0], v[vgprValuB_X2_I0+4+0+0], v[vgprValuA_X2_I0+12+0+0+1], a[140:143]
 // Ci += Ai*Br
/*  mfmaIndex:314  */
v_mfma_f32_16x16x4_f32 a[28+0:31+0], v[vgprValuB_X2_I0+4+0+0+1], v141, a[28:31]
 // Cr += -Ai*Bi
/*  mfmaIndex:315  */
v_mfma_f32_16x16x4_f32 a[140+0:143+0], v[vgprValuB_X2_I0+4+0+0+1], v[vgprValuA_X2_I0+12+0+0], a[140:143]
 // Ci += Ar*Bi
/*  mfmaIndex:316  */
v_mfma_f32_16x16x4_f32 a[44+0:47+0], v[vgprValuB_X2_I0+8+0+0], v[vgprValuA_X2_I0+12+0+0], a[44:47]
 // Cr += Ar*Br
/*  mfmaIndex:317  */
v_mfma_f32_16x16x4_f32 a[156+0:159+0], v[vgprValuB_X2_I0+8+0+0], v[vgprValuA_X2_I0+12+0+0+1], a[156:159]
 // Ci += Ai*Br
/*  mfmaIndex:318  */
v_mfma_f32_16x16x4_f32 a[44+0:47+0], v[vgprValuB_X2_I0+8+0+0+1], v141, a[44:47]
 // Cr += -Ai*Bi
/*  mfmaIndex:319  */
/* sched write - iter 2 writesPerItem=1 */
s_waitcnt vmcnt(0)                                 // lgkmcnt=-1 vmcnt=0wait for global read before writing to local
_ds_store_b64 v[vgprLocalWriteAddrB], v[vgprG2LB+0:vgprG2LB+0+1] offset:0 // lwoB_0_0_0_0 = (0*LSCB)*(MT1J+PAD) + (0*LSPB) = 0
v_mfma_f32_16x16x4_f32 a[156+0:159+0], v[vgprValuB_X2_I0+8+0+0+1], v[vgprValuA_X2_I0+12+0+0], a[156:159]
 // Ci += Ar*Bi
/*  mfmaIndex:320  */
_buffer_load_b64 v[vgprG2LB+0:vgprG2LB+0+1], v[vgprGlobalReadOffsetB+0], s[sgprSrdB:sgprSrdB+3], 0, offen offset:0 // G -> Reg 0_0_0_0
v_mfma_f32_16x16x4_f32 a[60+0:63+0], v[vgprValuB_X2_I0+12+0+0], v[vgprValuA_X2_I0+12+0+0], a[60:63]
 // Cr += Ar*Br
/*  mfmaIndex:321  */
v_mfma_f32_16x16x4_f32 a[172+0:175+0], v[vgprValuB_X2_I0+12+0+0], v[vgprValuA_X2_I0+12+0+0+1], a[172:175]
 // Ci += Ai*Br
/*  mfmaIndex:322  */
v_mfma_f32_16x16x4_f32 a[60+0:63+0], v[vgprValuB_X2_I0+12+0+0+1], v141, a[60:63]
 // Cr += -Ai*Bi
/*  mfmaIndex:323  */
v_mfma_f32_16x16x4_f32 a[172+0:175+0], v[vgprValuB_X2_I0+12+0+0+1], v[vgprValuA_X2_I0+12+0+0], a[172:175]
 // Ci += Ar*Bi
/*  mfmaIndex:324  */
v_mfma_f32_16x16x4_f32 a[76+0:79+0], v[vgprValuB_X2_I0+16+0+0], v[vgprValuA_X2_I0+12+0+0], a[76:79]
 // Cr += Ar*Br
/*  mfmaIndex:325  */
v_mfma_f32_16x16x4_f32 a[188+0:191+0], v[vgprValuB_X2_I0+16+0+0], v[vgprValuA_X2_I0+12+0+0+1], a[188:191]
 // Ci += Ai*Br
/*  mfmaIndex:326  */
v_mfma_f32_16x16x4_f32 a[76+0:79+0], v[vgprValuB_X2_I0+16+0+0+1], v141, a[76:79]
 // Cr += -Ai*Bi
/*  mfmaIndex:327  */
v_mfma_f32_16x16x4_f32 a[188+0:191+0], v[vgprValuB_X2_I0+16+0+0+1], v[vgprValuA_X2_I0+12+0+0], a[188:191]
 // Ci += Ar*Bi
/*  mfmaIndex:328  */
	;; [unrolled: 12-line block ×3, first 2 shown]
v_mfma_f32_16x16x4_f32 a[108+0:111+0], v[vgprValuB_X2_I0+24+0+0], v[vgprValuA_X2_I0+12+0+0], a[108:111]
 // Cr += Ar*Br
/*  mfmaIndex:333  */
v_mfma_f32_16x16x4_f32 a[220+0:223+0], v[vgprValuB_X2_I0+24+0+0], v[vgprValuA_X2_I0+12+0+0+1], a[220:223]
 // Ci += Ai*Br
/*  mfmaIndex:334  */
v_mfma_f32_16x16x4_f32 a[108+0:111+0], v[vgprValuB_X2_I0+24+0+0+1], v141, a[108:111]
 // Cr += -Ai*Bi
/*  mfmaIndex:335  */

/* local read swap offsets a */

/* local read swap offsets b */

/* local read init pointers a */

/* localReadInitPointers */

/* local read init pointers b */

/* localReadInitPointers */
v_mfma_f32_16x16x4_f32 a[220+0:223+0], v[vgprValuB_X2_I0+24+0+0+1], v[vgprValuA_X2_I0+12+0+0], a[220:223]
 // Ci += Ar*Bi


/* iter 3 (swap and reset local write pointers iteration)  */

/*  grEndMfmaIndex:6, lwStartMfmaIndex:29, lwEndMfmaIndex:430  */
/*  numMfmaForLR:15, barrierMfmaIndex:432, LocalWritePerMfma:0.055 */
/*  mfmaIndex:336  */
v_add_f32 v141, -v[vgprValuA_X2_I0+0+2+0+1], 0     // Ai=-Ai
v_mfma_f32_16x16x4_f32 a[0+0:3+0], v[vgprValuB_X2_I0+0+2+0], v[vgprValuA_X2_I0+0+2+0], a[0:3]
 // Cr += Ar*Br
/*  mfmaIndex:337  */
v_mfma_f32_16x16x4_f32 a[112+0:115+0], v[vgprValuB_X2_I0+0+2+0], v[vgprValuA_X2_I0+0+2+0+1], a[112:115]
 // Ci += Ai*Br
/*  mfmaIndex:338  */
/* sched write - iter 3 writesPerItem=1 */
s_waitcnt vmcnt(0)                                 // lgkmcnt=-1 vmcnt=0wait for global read before writing to local
_ds_store_b64 v[vgprLocalWriteAddrB], v[vgprG2LB+2:vgprG2LB+2+1] offset:2560 // lwoB_0_0_1_0 = (0*LSCB)*(MT1J+PAD) + (1*LSPB) = 2560
v_mfma_f32_16x16x4_f32 a[0+0:3+0], v[vgprValuB_X2_I0+0+2+0+1], v141, a[0:3]
 // Cr += -Ai*Bi
/*  mfmaIndex:339  */
_buffer_load_b64 v[vgprG2LB+2:vgprG2LB+2+1], v[vgprGlobalReadOffsetB+0], s[sgprSrdB:sgprSrdB+3], s[sgprScalarGlobalReadOffsetB+0], offen offset:0 // G -> Reg 0_0_1_0
v_mfma_f32_16x16x4_f32 a[112+0:115+0], v[vgprValuB_X2_I0+0+2+0+1], v[vgprValuA_X2_I0+0+2+0], a[112:115]
 // Ci += Ar*Bi
/*  mfmaIndex:340  */
v_mfma_f32_16x16x4_f32 a[16+0:19+0], v[vgprValuB_X2_I0+4+2+0], v[vgprValuA_X2_I0+0+2+0], a[16:19]
 // Cr += Ar*Br
/*  mfmaIndex:341  */
v_mfma_f32_16x16x4_f32 a[128+0:131+0], v[vgprValuB_X2_I0+4+2+0], v[vgprValuA_X2_I0+0+2+0+1], a[128:131]
 // Ci += Ai*Br
/*  mfmaIndex:342  */
v_mfma_f32_16x16x4_f32 a[16+0:19+0], v[vgprValuB_X2_I0+4+2+0+1], v141, a[16:19]
 // Cr += -Ai*Bi
/*  mfmaIndex:343  */
v_mfma_f32_16x16x4_f32 a[128+0:131+0], v[vgprValuB_X2_I0+4+2+0+1], v[vgprValuA_X2_I0+0+2+0], a[128:131]
 // Ci += Ar*Bi
/*  mfmaIndex:344  */
v_mfma_f32_16x16x4_f32 a[32+0:35+0], v[vgprValuB_X2_I0+8+2+0], v[vgprValuA_X2_I0+0+2+0], a[32:35]
 // Cr += Ar*Br
/*  mfmaIndex:345  */
v_mfma_f32_16x16x4_f32 a[144+0:147+0], v[vgprValuB_X2_I0+8+2+0], v[vgprValuA_X2_I0+0+2+0+1], a[144:147]
 // Ci += Ai*Br
/*  mfmaIndex:346  */
v_mfma_f32_16x16x4_f32 a[32+0:35+0], v[vgprValuB_X2_I0+8+2+0+1], v141, a[32:35]
 // Cr += -Ai*Bi
/*  mfmaIndex:347  */
	;; [unrolled: 12-line block ×4, first 2 shown]
v_mfma_f32_16x16x4_f32 a[176+0:179+0], v[vgprValuB_X2_I0+16+2+0+1], v[vgprValuA_X2_I0+0+2+0], a[176:179]
 // Ci += Ar*Bi
/*  mfmaIndex:356  */
/* sched write - iter 3 writesPerItem=1 */
s_waitcnt vmcnt(0)                                 // lgkmcnt=-1 vmcnt=0wait for global read before writing to local
_ds_store_b64 v[vgprLocalWriteAddrB], v[vgprG2LB+4:vgprG2LB+4+1] offset:5120 // lwoB_0_0_2_0 = (0*LSCB)*(MT1J+PAD) + (2*LSPB) = 5120
v_mfma_f32_16x16x4_f32 a[80+0:83+0], v[vgprValuB_X2_I0+20+2+0], v[vgprValuA_X2_I0+0+2+0], a[80:83]
 // Cr += Ar*Br
/*  mfmaIndex:357  */
_buffer_load_b64 v[vgprG2LB+4:vgprG2LB+4+1], v[vgprGlobalReadOffsetB+0], s[sgprSrdB:sgprSrdB+3], s[sgprScalarGlobalReadOffsetB+1], offen offset:0 // G -> Reg 0_0_2_0
v_mfma_f32_16x16x4_f32 a[192+0:195+0], v[vgprValuB_X2_I0+20+2+0], v[vgprValuA_X2_I0+0+2+0+1], a[192:195]
 // Ci += Ai*Br
/*  mfmaIndex:358  */
v_mfma_f32_16x16x4_f32 a[80+0:83+0], v[vgprValuB_X2_I0+20+2+0+1], v141, a[80:83]
 // Cr += -Ai*Bi
/*  mfmaIndex:359  */
v_mfma_f32_16x16x4_f32 a[192+0:195+0], v[vgprValuB_X2_I0+20+2+0+1], v[vgprValuA_X2_I0+0+2+0], a[192:195]
 // Ci += Ar*Bi
/*  mfmaIndex:360  */
v_mfma_f32_16x16x4_f32 a[96+0:99+0], v[vgprValuB_X2_I0+24+2+0], v[vgprValuA_X2_I0+0+2+0], a[96:99]
 // Cr += Ar*Br
/*  mfmaIndex:361  */
v_mfma_f32_16x16x4_f32 a[208+0:211+0], v[vgprValuB_X2_I0+24+2+0], v[vgprValuA_X2_I0+0+2+0+1], a[208:211]
 // Ci += Ai*Br
/*  mfmaIndex:362  */
v_mfma_f32_16x16x4_f32 a[96+0:99+0], v[vgprValuB_X2_I0+24+2+0+1], v141, a[96:99]
 // Cr += -Ai*Bi
/*  mfmaIndex:363  */
v_mfma_f32_16x16x4_f32 a[208+0:211+0], v[vgprValuB_X2_I0+24+2+0+1], v[vgprValuA_X2_I0+0+2+0], a[208:211]
 // Ci += Ar*Bi
/*  mfmaIndex:364  */
v_add_f32 v141, -v[vgprValuA_X2_I0+4+2+0+1], 0     // Ai=-Ai
v_mfma_f32_16x16x4_f32 a[4+0:7+0], v[vgprValuB_X2_I0+0+2+0], v[vgprValuA_X2_I0+4+2+0], a[4:7]
 // Cr += Ar*Br
/*  mfmaIndex:365  */
v_mfma_f32_16x16x4_f32 a[116+0:119+0], v[vgprValuB_X2_I0+0+2+0], v[vgprValuA_X2_I0+4+2+0+1], a[116:119]
 // Ci += Ai*Br
/*  mfmaIndex:366  */
v_mfma_f32_16x16x4_f32 a[4+0:7+0], v[vgprValuB_X2_I0+0+2+0+1], v141, a[4:7]
 // Cr += -Ai*Bi
/*  mfmaIndex:367  */
v_mfma_f32_16x16x4_f32 a[116+0:119+0], v[vgprValuB_X2_I0+0+2+0+1], v[vgprValuA_X2_I0+4+2+0], a[116:119]
 // Ci += Ar*Bi
/*  mfmaIndex:368  */
v_mfma_f32_16x16x4_f32 a[20+0:23+0], v[vgprValuB_X2_I0+4+2+0], v[vgprValuA_X2_I0+4+2+0], a[20:23]
 // Cr += Ar*Br
/*  mfmaIndex:369  */
v_mfma_f32_16x16x4_f32 a[132+0:135+0], v[vgprValuB_X2_I0+4+2+0], v[vgprValuA_X2_I0+4+2+0+1], a[132:135]
 // Ci += Ai*Br
/*  mfmaIndex:370  */
v_mfma_f32_16x16x4_f32 a[20+0:23+0], v[vgprValuB_X2_I0+4+2+0+1], v141, a[20:23]
 // Cr += -Ai*Bi
/*  mfmaIndex:371  */
v_mfma_f32_16x16x4_f32 a[132+0:135+0], v[vgprValuB_X2_I0+4+2+0+1], v[vgprValuA_X2_I0+4+2+0], a[132:135]
 // Ci += Ar*Bi
/*  mfmaIndex:372  */
v_mfma_f32_16x16x4_f32 a[36+0:39+0], v[vgprValuB_X2_I0+8+2+0], v[vgprValuA_X2_I0+4+2+0], a[36:39]
 // Cr += Ar*Br
/*  mfmaIndex:373  */
v_mfma_f32_16x16x4_f32 a[148+0:151+0], v[vgprValuB_X2_I0+8+2+0], v[vgprValuA_X2_I0+4+2+0+1], a[148:151]
 // Ci += Ai*Br
/*  mfmaIndex:374  */
/* sched write - iter 3 writesPerItem=1 */
s_waitcnt vmcnt(0)                                 // lgkmcnt=-1 vmcnt=0wait for global read before writing to local
_ds_store_b64 v[vgprLocalWriteAddrB], v[vgprG2LB+6:vgprG2LB+6+1] offset:7680 // lwoB_0_0_3_0 = (0*LSCB)*(MT1J+PAD) + (3*LSPB) = 7680
v_mfma_f32_16x16x4_f32 a[36+0:39+0], v[vgprValuB_X2_I0+8+2+0+1], v141, a[36:39]
 // Cr += -Ai*Bi
/*  mfmaIndex:375  */
_buffer_load_b64 v[vgprG2LB+6:vgprG2LB+6+1], v[vgprGlobalReadOffsetB+0], s[sgprSrdB:sgprSrdB+3], s[sgprScalarGlobalReadOffsetB+2], offen offset:0 // G -> Reg 0_0_3_0
v_mfma_f32_16x16x4_f32 a[148+0:151+0], v[vgprValuB_X2_I0+8+2+0+1], v[vgprValuA_X2_I0+4+2+0], a[148:151]
 // Ci += Ar*Bi
/*  mfmaIndex:376  */
v_mfma_f32_16x16x4_f32 a[52+0:55+0], v[vgprValuB_X2_I0+12+2+0], v[vgprValuA_X2_I0+4+2+0], a[52:55]
 // Cr += Ar*Br
/*  mfmaIndex:377  */
v_mfma_f32_16x16x4_f32 a[164+0:167+0], v[vgprValuB_X2_I0+12+2+0], v[vgprValuA_X2_I0+4+2+0+1], a[164:167]
 // Ci += Ai*Br
/*  mfmaIndex:378  */
v_mfma_f32_16x16x4_f32 a[52+0:55+0], v[vgprValuB_X2_I0+12+2+0+1], v141, a[52:55]
 // Cr += -Ai*Bi
/*  mfmaIndex:379  */
v_mfma_f32_16x16x4_f32 a[164+0:167+0], v[vgprValuB_X2_I0+12+2+0+1], v[vgprValuA_X2_I0+4+2+0], a[164:167]
 // Ci += Ar*Bi
/*  mfmaIndex:380  */
v_mfma_f32_16x16x4_f32 a[68+0:71+0], v[vgprValuB_X2_I0+16+2+0], v[vgprValuA_X2_I0+4+2+0], a[68:71]
 // Cr += Ar*Br
/*  mfmaIndex:381  */
v_mfma_f32_16x16x4_f32 a[180+0:183+0], v[vgprValuB_X2_I0+16+2+0], v[vgprValuA_X2_I0+4+2+0+1], a[180:183]
 // Ci += Ai*Br
/*  mfmaIndex:382  */
v_mfma_f32_16x16x4_f32 a[68+0:71+0], v[vgprValuB_X2_I0+16+2+0+1], v141, a[68:71]
 // Cr += -Ai*Bi
/*  mfmaIndex:383  */
	;; [unrolled: 12-line block ×4, first 2 shown]
v_mfma_f32_16x16x4_f32 a[212+0:215+0], v[vgprValuB_X2_I0+24+2+0+1], v[vgprValuA_X2_I0+4+2+0], a[212:215]
 // Ci += Ar*Bi
/*  mfmaIndex:392  */
/* sched write - iter 3 writesPerItem=1 */
s_waitcnt vmcnt(0)                                 // lgkmcnt=-1 vmcnt=0wait for global read before writing to local
_ds_store_b64 v[vgprLocalWriteAddrB], v[vgprG2LB+8:vgprG2LB+8+1] offset:10240 // lwoB_0_0_4_0 = (0*LSCB)*(MT1J+PAD) + (4*LSPB) = 10240
v_add_f32 v141, -v[vgprValuA_X2_I0+8+2+0+1], 0     // Ai=-Ai
v_mfma_f32_16x16x4_f32 a[8+0:11+0], v[vgprValuB_X2_I0+0+2+0], v[vgprValuA_X2_I0+8+2+0], a[8:11]
 // Cr += Ar*Br
/*  mfmaIndex:393  */
_buffer_load_b64 v[vgprG2LB+8:vgprG2LB+8+1], v[vgprGlobalReadOffsetB+0], s[sgprSrdB:sgprSrdB+3], s[sgprScalarGlobalReadOffsetB+3], offen offset:0 // G -> Reg 0_0_4_0
v_mfma_f32_16x16x4_f32 a[120+0:123+0], v[vgprValuB_X2_I0+0+2+0], v[vgprValuA_X2_I0+8+2+0+1], a[120:123]
 // Ci += Ai*Br
/*  mfmaIndex:394  */
v_mfma_f32_16x16x4_f32 a[8+0:11+0], v[vgprValuB_X2_I0+0+2+0+1], v141, a[8:11]
 // Cr += -Ai*Bi
/*  mfmaIndex:395  */
v_mfma_f32_16x16x4_f32 a[120+0:123+0], v[vgprValuB_X2_I0+0+2+0+1], v[vgprValuA_X2_I0+8+2+0], a[120:123]
 // Ci += Ar*Bi
/*  mfmaIndex:396  */
v_mfma_f32_16x16x4_f32 a[24+0:27+0], v[vgprValuB_X2_I0+4+2+0], v[vgprValuA_X2_I0+8+2+0], a[24:27]
 // Cr += Ar*Br
/*  mfmaIndex:397  */
v_mfma_f32_16x16x4_f32 a[136+0:139+0], v[vgprValuB_X2_I0+4+2+0], v[vgprValuA_X2_I0+8+2+0+1], a[136:139]
 // Ci += Ai*Br
/*  mfmaIndex:398  */
v_mfma_f32_16x16x4_f32 a[24+0:27+0], v[vgprValuB_X2_I0+4+2+0+1], v141, a[24:27]
 // Cr += -Ai*Bi
/*  mfmaIndex:399  */
v_mfma_f32_16x16x4_f32 a[136+0:139+0], v[vgprValuB_X2_I0+4+2+0+1], v[vgprValuA_X2_I0+8+2+0], a[136:139]
 // Ci += Ar*Bi
/*  mfmaIndex:400  */
v_mfma_f32_16x16x4_f32 a[40+0:43+0], v[vgprValuB_X2_I0+8+2+0], v[vgprValuA_X2_I0+8+2+0], a[40:43]
 // Cr += Ar*Br
/*  mfmaIndex:401  */
	;; [unrolled: 12-line block ×4, first 2 shown]
v_mfma_f32_16x16x4_f32 a[184+0:187+0], v[vgprValuB_X2_I0+16+2+0], v[vgprValuA_X2_I0+8+2+0+1], a[184:187]
 // Ci += Ai*Br
/*  mfmaIndex:410  */
/* sched write - iter 3 writesPerItem=1 */
s_waitcnt vmcnt(0)                                 // lgkmcnt=-1 vmcnt=0wait for global read before writing to local
_ds_store_b64 v[vgprLocalWriteAddrB], v[vgprG2LB+10:vgprG2LB+10+1] offset:12800 // lwoB_0_0_5_0 = (0*LSCB)*(MT1J+PAD) + (5*LSPB) = 12800
v_mfma_f32_16x16x4_f32 a[72+0:75+0], v[vgprValuB_X2_I0+16+2+0+1], v141, a[72:75]
 // Cr += -Ai*Bi
/*  mfmaIndex:411  */
_buffer_load_b64 v[vgprG2LB+10:vgprG2LB+10+1], v[vgprGlobalReadOffsetB+0], s[sgprSrdB:sgprSrdB+3], s[sgprScalarGlobalReadOffsetB+4], offen offset:0 // G -> Reg 0_0_5_0
v_mfma_f32_16x16x4_f32 a[184+0:187+0], v[vgprValuB_X2_I0+16+2+0+1], v[vgprValuA_X2_I0+8+2+0], a[184:187]
 // Ci += Ar*Bi
/*  mfmaIndex:412  */
v_mfma_f32_16x16x4_f32 a[88+0:91+0], v[vgprValuB_X2_I0+20+2+0], v[vgprValuA_X2_I0+8+2+0], a[88:91]
 // Cr += Ar*Br
/*  mfmaIndex:413  */
v_mfma_f32_16x16x4_f32 a[200+0:203+0], v[vgprValuB_X2_I0+20+2+0], v[vgprValuA_X2_I0+8+2+0+1], a[200:203]
 // Ci += Ai*Br
/*  mfmaIndex:414  */
v_mfma_f32_16x16x4_f32 a[88+0:91+0], v[vgprValuB_X2_I0+20+2+0+1], v141, a[88:91]
 // Cr += -Ai*Bi
/*  mfmaIndex:415  */
v_mfma_f32_16x16x4_f32 a[200+0:203+0], v[vgprValuB_X2_I0+20+2+0+1], v[vgprValuA_X2_I0+8+2+0], a[200:203]
 // Ci += Ar*Bi
/*  mfmaIndex:416  */
v_mfma_f32_16x16x4_f32 a[104+0:107+0], v[vgprValuB_X2_I0+24+2+0], v[vgprValuA_X2_I0+8+2+0], a[104:107]
 // Cr += Ar*Br
/*  mfmaIndex:417  */
v_mfma_f32_16x16x4_f32 a[216+0:219+0], v[vgprValuB_X2_I0+24+2+0], v[vgprValuA_X2_I0+8+2+0+1], a[216:219]
 // Ci += Ai*Br
/*  mfmaIndex:418  */
v_mfma_f32_16x16x4_f32 a[104+0:107+0], v[vgprValuB_X2_I0+24+2+0+1], v141, a[104:107]
 // Cr += -Ai*Bi
/*  mfmaIndex:419  */
v_mfma_f32_16x16x4_f32 a[216+0:219+0], v[vgprValuB_X2_I0+24+2+0+1], v[vgprValuA_X2_I0+8+2+0], a[216:219]
 // Ci += Ar*Bi
/*  mfmaIndex:420  */
v_add_f32 v141, -v[vgprValuA_X2_I0+12+2+0+1], 0    // Ai=-Ai
v_mfma_f32_16x16x4_f32 a[12+0:15+0], v[vgprValuB_X2_I0+0+2+0], v[vgprValuA_X2_I0+12+2+0], a[12:15]
 // Cr += Ar*Br
/*  mfmaIndex:421  */
v_mfma_f32_16x16x4_f32 a[124+0:127+0], v[vgprValuB_X2_I0+0+2+0], v[vgprValuA_X2_I0+12+2+0+1], a[124:127]
 // Ci += Ai*Br
/*  mfmaIndex:422  */
v_mfma_f32_16x16x4_f32 a[12+0:15+0], v[vgprValuB_X2_I0+0+2+0+1], v141, a[12:15]
 // Cr += -Ai*Bi
/*  mfmaIndex:423  */
v_mfma_f32_16x16x4_f32 a[124+0:127+0], v[vgprValuB_X2_I0+0+2+0+1], v[vgprValuA_X2_I0+12+2+0], a[124:127]
 // Ci += Ar*Bi
/*  mfmaIndex:424  */
v_mfma_f32_16x16x4_f32 a[28+0:31+0], v[vgprValuB_X2_I0+4+2+0], v[vgprValuA_X2_I0+12+2+0], a[28:31]
 // Cr += Ar*Br
/*  mfmaIndex:425  */
v_mfma_f32_16x16x4_f32 a[140+0:143+0], v[vgprValuB_X2_I0+4+2+0], v[vgprValuA_X2_I0+12+2+0+1], a[140:143]
 // Ci += Ai*Br
/*  mfmaIndex:426  */
v_mfma_f32_16x16x4_f32 a[28+0:31+0], v[vgprValuB_X2_I0+4+2+0+1], v141, a[28:31]
 // Cr += -Ai*Bi
/*  mfmaIndex:427  */
v_mfma_f32_16x16x4_f32 a[140+0:143+0], v[vgprValuB_X2_I0+4+2+0+1], v[vgprValuA_X2_I0+12+2+0], a[140:143]
 // Ci += Ar*Bi
/*  mfmaIndex:428  */
v_mfma_f32_16x16x4_f32 a[44+0:47+0], v[vgprValuB_X2_I0+8+2+0], v[vgprValuA_X2_I0+12+2+0], a[44:47]
 // Cr += Ar*Br
/*  mfmaIndex:429  */
/* sched write - iter 3 writesPerItem=1 */
s_waitcnt vmcnt(0)                                 // lgkmcnt=-1 vmcnt=0wait for global read before writing to local
_ds_store_b64 v[vgprLocalWriteAddrB], v[vgprG2LB+12:vgprG2LB+12+1] offset:15360 // lwoB_0_0_6_0 = (0*LSCB)*(MT1J+PAD) + (6*LSPB) = 15360
v_mfma_f32_16x16x4_f32 a[156+0:159+0], v[vgprValuB_X2_I0+8+2+0], v[vgprValuA_X2_I0+12+2+0+1], a[156:159]
 // Ci += Ai*Br
/*  mfmaIndex:430  */
_buffer_load_b64 v[vgprG2LB+12:vgprG2LB+12+1], v[vgprGlobalReadOffsetB+0], s[sgprSrdB:sgprSrdB+3], s[sgprScalarGlobalReadOffsetB+5], offen offset:0 // G -> Reg 0_0_6_0

/* local write swap offsets a */

/* local write swap offsets b */
v_mfma_f32_16x16x4_f32 a[44+0:47+0], v[vgprValuB_X2_I0+8+2+0+1], v141, a[44:47]
 // Cr += -Ai*Bi
/*  mfmaIndex:431  */
v_mfma_f32_16x16x4_f32 a[156+0:159+0], v[vgprValuB_X2_I0+8+2+0+1], v[vgprValuA_X2_I0+12+2+0], a[156:159]
 // Ci += Ar*Bi
s_setprio 0                                        // store optimization
/*  mfmaIndex:432  */
s_waitcnt lgkmcnt(0)                               // lgkmcnt=0 vmcnt=-13wait for local write
// Skip force waitcnt0
s_barrier //
v_mfma_f32_16x16x4_f32 a[60+0:63+0], v[vgprValuB_X2_I0+12+2+0], v[vgprValuA_X2_I0+12+2+0], a[60:63]
 // Cr += Ar*Br
/*  mfmaIndex:433  */
s_setprio 3                                        // store optimization
_ds_load_b128 v[vgprValuA_X0_I0+0:vgprValuA_X0_I0+0+3], v[vgprLocalReadAddrA] offset:0 // L -> Reg lro=0 swapByteOffset=0 ti=128 vIdx=0 rIdx=0 oIdx=0 buffer=0 iui=0
v_mfma_f32_16x16x4_f32 a[172+0:175+0], v[vgprValuB_X2_I0+12+2+0], v[vgprValuA_X2_I0+12+2+0+1], a[172:175]
 // Ci += Ai*Br
/*  mfmaIndex:434  */
_ds_load_b128 v[vgprValuB_X0_I0+0:vgprValuB_X0_I0+0+3], v[vgprLocalReadAddrB] offset:0 // L -> Reg lro=0 swapByteOffset=0 ti=16 vIdx=0 rIdx=0 oIdx=0 buffer=0 iui=0
v_mfma_f32_16x16x4_f32 a[60+0:63+0], v[vgprValuB_X2_I0+12+2+0+1], v141, a[60:63]
 // Cr += -Ai*Bi
/*  mfmaIndex:435  */
_ds_load_b128 v[vgprValuA_X0_I0+4:vgprValuA_X0_I0+4+3], v[vgprLocalReadAddrA] offset:128 // L -> Reg lro=0 swapByteOffset=0 ti=128 vIdx=0 rIdx=0 oIdx=0 buffer=0 iui=0
v_mfma_f32_16x16x4_f32 a[172+0:175+0], v[vgprValuB_X2_I0+12+2+0+1], v[vgprValuA_X2_I0+12+2+0], a[172:175]
 // Ci += Ar*Bi
/*  mfmaIndex:436  */
_ds_load_b128 v[vgprValuA_X0_I0+8:vgprValuA_X0_I0+8+3], v[vgprLocalReadAddrA] offset:18432 // L -> Reg lro=0 swapByteOffset=0 ti=128 vIdx=1 rIdx=0 oIdx=0 buffer=0 iui=0
v_mfma_f32_16x16x4_f32 a[76+0:79+0], v[vgprValuB_X2_I0+16+2+0], v[vgprValuA_X2_I0+12+2+0], a[76:79]
 // Cr += Ar*Br
/*  mfmaIndex:437  */
_ds_load_b128 v[vgprValuA_X0_I0+12:vgprValuA_X0_I0+12+3], v[vgprLocalReadAddrA] offset:18560 // L -> Reg lro=0 swapByteOffset=0 ti=128 vIdx=1 rIdx=0 oIdx=0 buffer=0 iui=0
v_mfma_f32_16x16x4_f32 a[188+0:191+0], v[vgprValuB_X2_I0+16+2+0], v[vgprValuA_X2_I0+12+2+0+1], a[188:191]
 // Ci += Ai*Br
/*  mfmaIndex:438  */
_ds_load_b128 v[vgprValuB_X0_I0+4:vgprValuB_X0_I0+4+3], v[vgprLocalReadAddrB] offset:2560 // L -> Reg lro=0 swapByteOffset=0 ti=16 vIdx=1 rIdx=0 oIdx=0 buffer=0 iui=0
v_mfma_f32_16x16x4_f32 a[76+0:79+0], v[vgprValuB_X2_I0+16+2+0+1], v141, a[76:79]
 // Cr += -Ai*Bi
/*  mfmaIndex:439  */
_ds_load_b128 v[vgprValuB_X0_I0+8:vgprValuB_X0_I0+8+3], v[vgprLocalReadAddrB] offset:5120 // L -> Reg lro=0 swapByteOffset=0 ti=16 vIdx=2 rIdx=0 oIdx=0 buffer=0 iui=0
v_mfma_f32_16x16x4_f32 a[188+0:191+0], v[vgprValuB_X2_I0+16+2+0+1], v[vgprValuA_X2_I0+12+2+0], a[188:191]
 // Ci += Ar*Bi
/*  mfmaIndex:440  */
_ds_load_b128 v[vgprValuB_X0_I0+12:vgprValuB_X0_I0+12+3], v[vgprLocalReadAddrB] offset:7680 // L -> Reg lro=0 swapByteOffset=0 ti=16 vIdx=3 rIdx=0 oIdx=0 buffer=0 iui=0
v_mfma_f32_16x16x4_f32 a[92+0:95+0], v[vgprValuB_X2_I0+20+2+0], v[vgprValuA_X2_I0+12+2+0], a[92:95]
 // Cr += Ar*Br
/*  mfmaIndex:441  */
_ds_load_b128 v[vgprValuB_X0_I0+16:vgprValuB_X0_I0+16+3], v[vgprLocalReadAddrB] offset:10240 // L -> Reg lro=0 swapByteOffset=0 ti=16 vIdx=4 rIdx=0 oIdx=0 buffer=0 iui=0
v_mfma_f32_16x16x4_f32 a[204+0:207+0], v[vgprValuB_X2_I0+20+2+0], v[vgprValuA_X2_I0+12+2+0+1], a[204:207]
 // Ci += Ai*Br
/*  mfmaIndex:442  */
_ds_load_b128 v[vgprValuB_X0_I0+20:vgprValuB_X0_I0+20+3], v[vgprLocalReadAddrB] offset:12800 // L -> Reg lro=0 swapByteOffset=0 ti=16 vIdx=5 rIdx=0 oIdx=0 buffer=0 iui=0
v_mfma_f32_16x16x4_f32 a[92+0:95+0], v[vgprValuB_X2_I0+20+2+0+1], v141, a[92:95]
 // Cr += -Ai*Bi
/*  mfmaIndex:443  */
_ds_load_b128 v[vgprValuB_X0_I0+24:vgprValuB_X0_I0+24+3], v[vgprLocalReadAddrB] offset:15360 // L -> Reg lro=0 swapByteOffset=0 ti=16 vIdx=6 rIdx=0 oIdx=0 buffer=0 iui=0
v_mfma_f32_16x16x4_f32 a[204+0:207+0], v[vgprValuB_X2_I0+20+2+0+1], v[vgprValuA_X2_I0+12+2+0], a[204:207]
 // Ci += Ar*Bi
/*  mfmaIndex:444  */
v_mfma_f32_16x16x4_f32 a[108+0:111+0], v[vgprValuB_X2_I0+24+2+0], v[vgprValuA_X2_I0+12+2+0], a[108:111]
 // Cr += Ar*Br
/*  mfmaIndex:445  */
v_mfma_f32_16x16x4_f32 a[220+0:223+0], v[vgprValuB_X2_I0+24+2+0], v[vgprValuA_X2_I0+12+2+0+1], a[220:223]
 // Ci += Ai*Br
/*  mfmaIndex:446  */
v_mfma_f32_16x16x4_f32 a[108+0:111+0], v[vgprValuB_X2_I0+24+2+0+1], v141, a[108:111]
 // Cr += -Ai*Bi
/*  mfmaIndex:447  */
v_mfma_f32_16x16x4_f32 a[220+0:223+0], v[vgprValuB_X2_I0+24+2+0+1], v[vgprValuA_X2_I0+12+2+0], a[220:223]
 // Ci += Ar*Bi
s_setprio 0                                        // store optimization


/******************************************/
/* Unrolled Loop - End 1/2                */
/******************************************/


/* closeLoop loopL finalLoop=0 tailLoop=0 */
s_sub_u32 s[sgprLoopCounterL], s[sgprLoopCounterL], 1 // dec counterL
s_cmp_eq_i32 s[sgprLoopCounterL], 0x2              // counterL==2
s_cbranch_scc1 LoopEndL_oddexit_3                  // exit LoopL


/******************************************/
/* Unrolled Loop 2/2 - Begin              */
/******************************************/

label_0016: // LoopCopy2 


/* Begin Each Unroll: Check VGPR.checkin for INT8 LW */


	;; [unrolled: 1-line block ×3, first 2 shown]
/* iter 0 */

/*  grEndMfmaIndex:6, lwStartMfmaIndex:29, lwEndMfmaIndex:430  */
/*  numMfmaForLR:15, barrierMfmaIndex:432, LocalWritePerMfma:0.055 */
/*  mfmaIndex:0  */
s_waitcnt lgkmcnt(0)                               // lgkmcnt=0 vmcnt=-1wait for prior local read local write old=0, new=0 newLW=0 newLR=0
v_add_f32 v141, -v[vgprValuA_X0_I0+0+0+0+1], 0     // Ai=-Ai
v_mfma_f32_16x16x4_f32 a[0+0:3+0], v[vgprValuB_X0_I0+0+0+0], v[vgprValuA_X0_I0+0+0+0], a[0:3]
 // Cr += Ar*Br
/*  mfmaIndex:1  */
_ds_load_b128 v[vgprValuA_X2_I0+0:vgprValuA_X2_I0+0+3], v[vgprLocalReadAddrA] offset:64 // L -> Reg lro=8 swapByteOffset=0 ti=128 vIdx=0 rIdx=0 oIdx=0 buffer=2 iui=0

/* global read inc A loopL */
s_cmp_eq_u32 s[sgprLoopCounterL], s[sgprStaggerUIter] // Is this the wrapIter?
s_cselect_b32 s82, s[sgprWrapUA+0], s[sgprGlobalReadIncsA+0] // incLower <- ?
s_cselect_b32 s83, s[sgprWrapUA+1], 0              // incUpper <- ?
v_mfma_f32_16x16x4_f32 a[112+0:115+0], v[vgprValuB_X0_I0+0+0+0], v[vgprValuA_X0_I0+0+0+0+1], a[112:115]
 // Ci += Ai*Br
/*  mfmaIndex:2  */
_ds_load_b128 v[vgprValuB_X2_I0+0:vgprValuB_X2_I0+0+3], v[vgprLocalReadAddrB] offset:64 // L -> Reg lro=8 swapByteOffset=0 ti=16 vIdx=0 rIdx=0 oIdx=0 buffer=2 iui=0
s_add_u32 s[sgprSrdA+0], s[sgprSrdA+0], s82        // gra SRD += inc(lower)
s_addc_u32  s[sgprSrdA+1], s[sgprSrdA+1], s83      // gra SRD += inc(upper)
s_sub_u32 s[sgprShadowLimitA+0], s[sgprShadowLimitA+0], s82 // limit -= inc)
v_mfma_f32_16x16x4_f32 a[0+0:3+0], v[vgprValuB_X0_I0+0+0+0+1], v141, a[0:3]
 // Cr += -Ai*Bi
/*  mfmaIndex:3  */
_ds_load_b128 v[vgprValuA_X2_I0+4:vgprValuA_X2_I0+4+3], v[vgprLocalReadAddrA] offset:192 // L -> Reg lro=8 swapByteOffset=0 ti=128 vIdx=0 rIdx=0 oIdx=0 buffer=2 iui=0
s_subb_u32 s[sgprShadowLimitA+1], s[sgprShadowLimitA+1], s83 // limit -= inc)
s_cmp_eq_u32 s[sgprShadowLimitA+1], 0              // are we within 2^32?
s_cselect_b32 s[sgprSrdA+2], s[sgprShadowLimitA+0], BufferLimitA // Move shadow to real if we are within 2^32
v_mfma_f32_16x16x4_f32 a[112+0:115+0], v[vgprValuB_X0_I0+0+0+0+1], v[vgprValuA_X0_I0+0+0+0], a[112:115]
 // Ci += Ar*Bi
/*  mfmaIndex:4  */
_ds_load_b128 v[vgprValuA_X2_I0+8:vgprValuA_X2_I0+8+3], v[vgprLocalReadAddrA] offset:18496 // L -> Reg lro=8 swapByteOffset=0 ti=128 vIdx=1 rIdx=0 oIdx=0 buffer=2 iui=0

/* global read inc B loopL */
s_cmp_eq_u32 s[sgprLoopCounterL], s[sgprStaggerUIter] // Is this the wrapIter?
s_cselect_b32 s82, s[sgprWrapUB+0], s[sgprGlobalReadIncsB+0] // incLower <- ?
s_cselect_b32 s83, s[sgprWrapUB+1], 0              // incUpper <- ?
v_mfma_f32_16x16x4_f32 a[16+0:19+0], v[vgprValuB_X0_I0+4+0+0], v[vgprValuA_X0_I0+0+0+0], a[16:19]
 // Cr += Ar*Br
/*  mfmaIndex:5  */
_ds_load_b128 v[vgprValuA_X2_I0+12:vgprValuA_X2_I0+12+3], v[vgprLocalReadAddrA] offset:18624 // L -> Reg lro=8 swapByteOffset=0 ti=128 vIdx=1 rIdx=0 oIdx=0 buffer=2 iui=0
s_add_u32 s[sgprSrdB+0], s[sgprSrdB+0], s82        // gra SRD += inc(lower)
s_addc_u32  s[sgprSrdB+1], s[sgprSrdB+1], s83      // gra SRD += inc(upper)
s_sub_u32 s[sgprShadowLimitB+0], s[sgprShadowLimitB+0], s82 // limit -= inc)
v_mfma_f32_16x16x4_f32 a[128+0:131+0], v[vgprValuB_X0_I0+4+0+0], v[vgprValuA_X0_I0+0+0+0+1], a[128:131]
 // Ci += Ai*Br
/*  mfmaIndex:6  */
_ds_load_b128 v[vgprValuB_X2_I0+4:vgprValuB_X2_I0+4+3], v[vgprLocalReadAddrB] offset:2624 // L -> Reg lro=8 swapByteOffset=0 ti=16 vIdx=1 rIdx=0 oIdx=0 buffer=2 iui=0
s_subb_u32 s[sgprShadowLimitB+1], s[sgprShadowLimitB+1], s83 // limit -= inc)
s_cmp_eq_u32 s[sgprShadowLimitB+1], 0              // are we within 2^32?
s_cselect_b32 s[sgprSrdB+2], s[sgprShadowLimitB+0], BufferLimitB // Move shadow to real if we are within 2^32
v_mfma_f32_16x16x4_f32 a[16+0:19+0], v[vgprValuB_X0_I0+4+0+0+1], v141, a[16:19]
 // Cr += -Ai*Bi
/*  mfmaIndex:7  */
_ds_load_b128 v[vgprValuB_X2_I0+8:vgprValuB_X2_I0+8+3], v[vgprLocalReadAddrB] offset:5184 // L -> Reg lro=8 swapByteOffset=0 ti=16 vIdx=2 rIdx=0 oIdx=0 buffer=2 iui=0
v_mfma_f32_16x16x4_f32 a[128+0:131+0], v[vgprValuB_X0_I0+4+0+0+1], v[vgprValuA_X0_I0+0+0+0], a[128:131]
 // Ci += Ar*Bi
/*  mfmaIndex:8  */
_ds_load_b128 v[vgprValuB_X2_I0+12:vgprValuB_X2_I0+12+3], v[vgprLocalReadAddrB] offset:7744 // L -> Reg lro=8 swapByteOffset=0 ti=16 vIdx=3 rIdx=0 oIdx=0 buffer=2 iui=0
v_mfma_f32_16x16x4_f32 a[32+0:35+0], v[vgprValuB_X0_I0+8+0+0], v[vgprValuA_X0_I0+0+0+0], a[32:35]
 // Cr += Ar*Br
/*  mfmaIndex:9  */
_ds_load_b128 v[vgprValuB_X2_I0+16:vgprValuB_X2_I0+16+3], v[vgprLocalReadAddrB] offset:10304 // L -> Reg lro=8 swapByteOffset=0 ti=16 vIdx=4 rIdx=0 oIdx=0 buffer=2 iui=0
v_mfma_f32_16x16x4_f32 a[144+0:147+0], v[vgprValuB_X0_I0+8+0+0], v[vgprValuA_X0_I0+0+0+0+1], a[144:147]
 // Ci += Ai*Br
/*  mfmaIndex:10  */
_ds_load_b128 v[vgprValuB_X2_I0+20:vgprValuB_X2_I0+20+3], v[vgprLocalReadAddrB] offset:12864 // L -> Reg lro=8 swapByteOffset=0 ti=16 vIdx=5 rIdx=0 oIdx=0 buffer=2 iui=0
v_mfma_f32_16x16x4_f32 a[32+0:35+0], v[vgprValuB_X0_I0+8+0+0+1], v141, a[32:35]
 // Cr += -Ai*Bi
/*  mfmaIndex:11  */
_ds_load_b128 v[vgprValuB_X2_I0+24:vgprValuB_X2_I0+24+3], v[vgprLocalReadAddrB] offset:15424 // L -> Reg lro=8 swapByteOffset=0 ti=16 vIdx=6 rIdx=0 oIdx=0 buffer=2 iui=0
/* localReadsVacancy: latencyLeft 1 */
v_mfma_f32_16x16x4_f32 a[144+0:147+0], v[vgprValuB_X0_I0+8+0+0+1], v[vgprValuA_X0_I0+0+0+0], a[144:147]
 // Ci += Ar*Bi
/*  mfmaIndex:12  */
/* localReadsVacancy: latencyLeft 5 */
v_mfma_f32_16x16x4_f32 a[48+0:51+0], v[vgprValuB_X0_I0+12+0+0], v[vgprValuA_X0_I0+0+0+0], a[48:51]
 // Cr += Ar*Br
/*  mfmaIndex:13  */
/* localReadsVacancy: latencyLeft 5 */
v_mfma_f32_16x16x4_f32 a[160+0:163+0], v[vgprValuB_X0_I0+12+0+0], v[vgprValuA_X0_I0+0+0+0+1], a[160:163]
 // Ci += Ai*Br
/*  mfmaIndex:14  */
/* localReadsVacancy: latencyLeft 5 */
v_mfma_f32_16x16x4_f32 a[48+0:51+0], v[vgprValuB_X0_I0+12+0+0+1], v141, a[48:51]
 // Cr += -Ai*Bi
/*  mfmaIndex:15  */
/* localReadsVacancy: latencyLeft 5 */
v_mfma_f32_16x16x4_f32 a[160+0:163+0], v[vgprValuB_X0_I0+12+0+0+1], v[vgprValuA_X0_I0+0+0+0], a[160:163]
 // Ci += Ar*Bi
/*  mfmaIndex:16  */
/* localReadsVacancy: latencyLeft 5 */
v_mfma_f32_16x16x4_f32 a[64+0:67+0], v[vgprValuB_X0_I0+16+0+0], v[vgprValuA_X0_I0+0+0+0], a[64:67]
 // Cr += Ar*Br
/*  mfmaIndex:17  */
/* localReadsVacancy: latencyLeft 5 */
v_mfma_f32_16x16x4_f32 a[176+0:179+0], v[vgprValuB_X0_I0+16+0+0], v[vgprValuA_X0_I0+0+0+0+1], a[176:179]
 // Ci += Ai*Br
/*  mfmaIndex:18  */
/* localReadsVacancy: latencyLeft 5 */
v_mfma_f32_16x16x4_f32 a[64+0:67+0], v[vgprValuB_X0_I0+16+0+0+1], v141, a[64:67]
 // Cr += -Ai*Bi
/*  mfmaIndex:19  */
	;; [unrolled: 16-line block ×4, first 2 shown]
/* localReadsVacancy: latencyLeft 5 */
v_mfma_f32_16x16x4_f32 a[208+0:211+0], v[vgprValuB_X0_I0+24+0+0+1], v[vgprValuA_X0_I0+0+0+0], a[208:211]
 // Ci += Ar*Bi
/*  mfmaIndex:28  */
/* localReadsVacancy: latencyLeft 5 */
/* 1 LDS buffer: read-sync-write */
s_waitcnt lgkmcnt(0)                               // 
s_barrier                                          // 
v_add_f32 v141, -v[vgprValuA_X0_I0+4+0+0+1], 0     // Ai=-Ai
v_mfma_f32_16x16x4_f32 a[4+0:7+0], v[vgprValuB_X0_I0+0+0+0], v[vgprValuA_X0_I0+4+0+0], a[4:7]
 // Cr += Ar*Br
/*  mfmaIndex:29  */
s_setprio 3                                        // store optimization
/* sched write - iter 0 writesPerItem=1 */
s_waitcnt vmcnt(0)                                 // lgkmcnt=-1 vmcnt=0wait for global read before writing to local
_ds_store_b64 v[vgprLocalWriteAddrA], v[vgprG2LA+0:vgprG2LA+0+1] offset:0 // lwoA_0_0_0_0 = (0*LSCA)*(MT0I+PAD) + (0*LSPA) = 0
v_mfma_f32_16x16x4_f32 a[116+0:119+0], v[vgprValuB_X0_I0+0+0+0], v[vgprValuA_X0_I0+4+0+0+1], a[116:119]
 // Ci += Ai*Br
/*  mfmaIndex:30  */
_buffer_load_b64 v[vgprG2LA+0:vgprG2LA+0+1], v[vgprGlobalReadOffsetA+0], s[sgprSrdA:sgprSrdA+3], 0, offen offset:0 // G -> Reg 0_0_0_0
v_mfma_f32_16x16x4_f32 a[4+0:7+0], v[vgprValuB_X0_I0+0+0+0+1], v141, a[4:7]
 // Cr += -Ai*Bi
/*  mfmaIndex:31  */
v_mfma_f32_16x16x4_f32 a[116+0:119+0], v[vgprValuB_X0_I0+0+0+0+1], v[vgprValuA_X0_I0+4+0+0], a[116:119]
 // Ci += Ar*Bi
/*  mfmaIndex:32  */
v_mfma_f32_16x16x4_f32 a[20+0:23+0], v[vgprValuB_X0_I0+4+0+0], v[vgprValuA_X0_I0+4+0+0], a[20:23]
 // Cr += Ar*Br
/*  mfmaIndex:33  */
v_mfma_f32_16x16x4_f32 a[132+0:135+0], v[vgprValuB_X0_I0+4+0+0], v[vgprValuA_X0_I0+4+0+0+1], a[132:135]
 // Ci += Ai*Br
/*  mfmaIndex:34  */
v_mfma_f32_16x16x4_f32 a[20+0:23+0], v[vgprValuB_X0_I0+4+0+0+1], v141, a[20:23]
 // Cr += -Ai*Bi
/*  mfmaIndex:35  */
v_mfma_f32_16x16x4_f32 a[132+0:135+0], v[vgprValuB_X0_I0+4+0+0+1], v[vgprValuA_X0_I0+4+0+0], a[132:135]
 // Ci += Ar*Bi
/*  mfmaIndex:36  */
v_mfma_f32_16x16x4_f32 a[36+0:39+0], v[vgprValuB_X0_I0+8+0+0], v[vgprValuA_X0_I0+4+0+0], a[36:39]
 // Cr += Ar*Br
/*  mfmaIndex:37  */
v_mfma_f32_16x16x4_f32 a[148+0:151+0], v[vgprValuB_X0_I0+8+0+0], v[vgprValuA_X0_I0+4+0+0+1], a[148:151]
 // Ci += Ai*Br
/*  mfmaIndex:38  */
	;; [unrolled: 12-line block ×4, first 2 shown]
v_mfma_f32_16x16x4_f32 a[68+0:71+0], v[vgprValuB_X0_I0+16+0+0+1], v141, a[68:71]
 // Cr += -Ai*Bi
/*  mfmaIndex:47  */
/* sched write - iter 0 writesPerItem=1 */
s_waitcnt vmcnt(0)                                 // lgkmcnt=-1 vmcnt=0wait for global read before writing to local
_ds_store_b64 v[vgprLocalWriteAddrA], v[vgprG2LA+2:vgprG2LA+2+1] offset:2304 // lwoA_0_0_1_0 = (0*LSCA)*(MT0I+PAD) + (1*LSPA) = 2304
v_mfma_f32_16x16x4_f32 a[180+0:183+0], v[vgprValuB_X0_I0+16+0+0+1], v[vgprValuA_X0_I0+4+0+0], a[180:183]
 // Ci += Ar*Bi
/*  mfmaIndex:48  */
_buffer_load_b64 v[vgprG2LA+2:vgprG2LA+2+1], v[vgprGlobalReadOffsetA+0], s[sgprSrdA:sgprSrdA+3], s[sgprScalarGlobalReadOffsetA+0], offen offset:0 // G -> Reg 0_0_1_0
v_mfma_f32_16x16x4_f32 a[84+0:87+0], v[vgprValuB_X0_I0+20+0+0], v[vgprValuA_X0_I0+4+0+0], a[84:87]
 // Cr += Ar*Br
/*  mfmaIndex:49  */
v_mfma_f32_16x16x4_f32 a[196+0:199+0], v[vgprValuB_X0_I0+20+0+0], v[vgprValuA_X0_I0+4+0+0+1], a[196:199]
 // Ci += Ai*Br
/*  mfmaIndex:50  */
v_mfma_f32_16x16x4_f32 a[84+0:87+0], v[vgprValuB_X0_I0+20+0+0+1], v141, a[84:87]
 // Cr += -Ai*Bi
/*  mfmaIndex:51  */
v_mfma_f32_16x16x4_f32 a[196+0:199+0], v[vgprValuB_X0_I0+20+0+0+1], v[vgprValuA_X0_I0+4+0+0], a[196:199]
 // Ci += Ar*Bi
/*  mfmaIndex:52  */
v_mfma_f32_16x16x4_f32 a[100+0:103+0], v[vgprValuB_X0_I0+24+0+0], v[vgprValuA_X0_I0+4+0+0], a[100:103]
 // Cr += Ar*Br
/*  mfmaIndex:53  */
v_mfma_f32_16x16x4_f32 a[212+0:215+0], v[vgprValuB_X0_I0+24+0+0], v[vgprValuA_X0_I0+4+0+0+1], a[212:215]
 // Ci += Ai*Br
/*  mfmaIndex:54  */
v_mfma_f32_16x16x4_f32 a[100+0:103+0], v[vgprValuB_X0_I0+24+0+0+1], v141, a[100:103]
 // Cr += -Ai*Bi
/*  mfmaIndex:55  */
v_mfma_f32_16x16x4_f32 a[212+0:215+0], v[vgprValuB_X0_I0+24+0+0+1], v[vgprValuA_X0_I0+4+0+0], a[212:215]
 // Ci += Ar*Bi
/*  mfmaIndex:56  */
v_add_f32 v141, -v[vgprValuA_X0_I0+8+0+0+1], 0     // Ai=-Ai
v_mfma_f32_16x16x4_f32 a[8+0:11+0], v[vgprValuB_X0_I0+0+0+0], v[vgprValuA_X0_I0+8+0+0], a[8:11]
 // Cr += Ar*Br
/*  mfmaIndex:57  */
v_mfma_f32_16x16x4_f32 a[120+0:123+0], v[vgprValuB_X0_I0+0+0+0], v[vgprValuA_X0_I0+8+0+0+1], a[120:123]
 // Ci += Ai*Br
/*  mfmaIndex:58  */
v_mfma_f32_16x16x4_f32 a[8+0:11+0], v[vgprValuB_X0_I0+0+0+0+1], v141, a[8:11]
 // Cr += -Ai*Bi
/*  mfmaIndex:59  */
v_mfma_f32_16x16x4_f32 a[120+0:123+0], v[vgprValuB_X0_I0+0+0+0+1], v[vgprValuA_X0_I0+8+0+0], a[120:123]
 // Ci += Ar*Bi
/*  mfmaIndex:60  */
v_mfma_f32_16x16x4_f32 a[24+0:27+0], v[vgprValuB_X0_I0+4+0+0], v[vgprValuA_X0_I0+8+0+0], a[24:27]
 // Cr += Ar*Br
/*  mfmaIndex:61  */
v_mfma_f32_16x16x4_f32 a[136+0:139+0], v[vgprValuB_X0_I0+4+0+0], v[vgprValuA_X0_I0+8+0+0+1], a[136:139]
 // Ci += Ai*Br
/*  mfmaIndex:62  */
v_mfma_f32_16x16x4_f32 a[24+0:27+0], v[vgprValuB_X0_I0+4+0+0+1], v141, a[24:27]
 // Cr += -Ai*Bi
/*  mfmaIndex:63  */
v_mfma_f32_16x16x4_f32 a[136+0:139+0], v[vgprValuB_X0_I0+4+0+0+1], v[vgprValuA_X0_I0+8+0+0], a[136:139]
 // Ci += Ar*Bi
/*  mfmaIndex:64  */
v_mfma_f32_16x16x4_f32 a[40+0:43+0], v[vgprValuB_X0_I0+8+0+0], v[vgprValuA_X0_I0+8+0+0], a[40:43]
 // Cr += Ar*Br
/*  mfmaIndex:65  */
/* sched write - iter 0 writesPerItem=1 */
s_waitcnt vmcnt(0)                                 // lgkmcnt=-1 vmcnt=0wait for global read before writing to local
_ds_store_b64 v[vgprLocalWriteAddrA], v[vgprG2LA+4:vgprG2LA+4+1] offset:4608 // lwoA_0_0_2_0 = (0*LSCA)*(MT0I+PAD) + (2*LSPA) = 4608
v_mfma_f32_16x16x4_f32 a[152+0:155+0], v[vgprValuB_X0_I0+8+0+0], v[vgprValuA_X0_I0+8+0+0+1], a[152:155]
 // Ci += Ai*Br
/*  mfmaIndex:66  */
_buffer_load_b64 v[vgprG2LA+4:vgprG2LA+4+1], v[vgprGlobalReadOffsetA+0], s[sgprSrdA:sgprSrdA+3], s[sgprScalarGlobalReadOffsetA+1], offen offset:0 // G -> Reg 0_0_2_0
v_mfma_f32_16x16x4_f32 a[40+0:43+0], v[vgprValuB_X0_I0+8+0+0+1], v141, a[40:43]
 // Cr += -Ai*Bi
/*  mfmaIndex:67  */
v_mfma_f32_16x16x4_f32 a[152+0:155+0], v[vgprValuB_X0_I0+8+0+0+1], v[vgprValuA_X0_I0+8+0+0], a[152:155]
 // Ci += Ar*Bi
/*  mfmaIndex:68  */
v_mfma_f32_16x16x4_f32 a[56+0:59+0], v[vgprValuB_X0_I0+12+0+0], v[vgprValuA_X0_I0+8+0+0], a[56:59]
 // Cr += Ar*Br
/*  mfmaIndex:69  */
v_mfma_f32_16x16x4_f32 a[168+0:171+0], v[vgprValuB_X0_I0+12+0+0], v[vgprValuA_X0_I0+8+0+0+1], a[168:171]
 // Ci += Ai*Br
/*  mfmaIndex:70  */
v_mfma_f32_16x16x4_f32 a[56+0:59+0], v[vgprValuB_X0_I0+12+0+0+1], v141, a[56:59]
 // Cr += -Ai*Bi
/*  mfmaIndex:71  */
v_mfma_f32_16x16x4_f32 a[168+0:171+0], v[vgprValuB_X0_I0+12+0+0+1], v[vgprValuA_X0_I0+8+0+0], a[168:171]
 // Ci += Ar*Bi
/*  mfmaIndex:72  */
v_mfma_f32_16x16x4_f32 a[72+0:75+0], v[vgprValuB_X0_I0+16+0+0], v[vgprValuA_X0_I0+8+0+0], a[72:75]
 // Cr += Ar*Br
/*  mfmaIndex:73  */
v_mfma_f32_16x16x4_f32 a[184+0:187+0], v[vgprValuB_X0_I0+16+0+0], v[vgprValuA_X0_I0+8+0+0+1], a[184:187]
 // Ci += Ai*Br
/*  mfmaIndex:74  */
	;; [unrolled: 12-line block ×4, first 2 shown]
v_mfma_f32_16x16x4_f32 a[104+0:107+0], v[vgprValuB_X0_I0+24+0+0+1], v141, a[104:107]
 // Cr += -Ai*Bi
/*  mfmaIndex:83  */
/* sched write - iter 0 writesPerItem=1 */
s_waitcnt vmcnt(0)                                 // lgkmcnt=-1 vmcnt=0wait for global read before writing to local
_ds_store_b64 v[vgprLocalWriteAddrA], v[vgprG2LA+6:vgprG2LA+6+1] offset:6912 // lwoA_0_0_3_0 = (0*LSCA)*(MT0I+PAD) + (3*LSPA) = 6912
v_mfma_f32_16x16x4_f32 a[216+0:219+0], v[vgprValuB_X0_I0+24+0+0+1], v[vgprValuA_X0_I0+8+0+0], a[216:219]
 // Ci += Ar*Bi
/*  mfmaIndex:84  */
_buffer_load_b64 v[vgprG2LA+6:vgprG2LA+6+1], v[vgprGlobalReadOffsetA+0], s[sgprSrdA:sgprSrdA+3], s[sgprScalarGlobalReadOffsetA+2], offen offset:0 // G -> Reg 0_0_3_0
v_add_f32 v141, -v[vgprValuA_X0_I0+12+0+0+1], 0    // Ai=-Ai
v_mfma_f32_16x16x4_f32 a[12+0:15+0], v[vgprValuB_X0_I0+0+0+0], v[vgprValuA_X0_I0+12+0+0], a[12:15]
 // Cr += Ar*Br
/*  mfmaIndex:85  */
v_mfma_f32_16x16x4_f32 a[124+0:127+0], v[vgprValuB_X0_I0+0+0+0], v[vgprValuA_X0_I0+12+0+0+1], a[124:127]
 // Ci += Ai*Br
/*  mfmaIndex:86  */
v_mfma_f32_16x16x4_f32 a[12+0:15+0], v[vgprValuB_X0_I0+0+0+0+1], v141, a[12:15]
 // Cr += -Ai*Bi
/*  mfmaIndex:87  */
v_mfma_f32_16x16x4_f32 a[124+0:127+0], v[vgprValuB_X0_I0+0+0+0+1], v[vgprValuA_X0_I0+12+0+0], a[124:127]
 // Ci += Ar*Bi
/*  mfmaIndex:88  */
v_mfma_f32_16x16x4_f32 a[28+0:31+0], v[vgprValuB_X0_I0+4+0+0], v[vgprValuA_X0_I0+12+0+0], a[28:31]
 // Cr += Ar*Br
/*  mfmaIndex:89  */
v_mfma_f32_16x16x4_f32 a[140+0:143+0], v[vgprValuB_X0_I0+4+0+0], v[vgprValuA_X0_I0+12+0+0+1], a[140:143]
 // Ci += Ai*Br
/*  mfmaIndex:90  */
v_mfma_f32_16x16x4_f32 a[28+0:31+0], v[vgprValuB_X0_I0+4+0+0+1], v141, a[28:31]
 // Cr += -Ai*Bi
/*  mfmaIndex:91  */
v_mfma_f32_16x16x4_f32 a[140+0:143+0], v[vgprValuB_X0_I0+4+0+0+1], v[vgprValuA_X0_I0+12+0+0], a[140:143]
 // Ci += Ar*Bi
/*  mfmaIndex:92  */
	;; [unrolled: 12-line block ×4, first 2 shown]
v_mfma_f32_16x16x4_f32 a[76+0:79+0], v[vgprValuB_X0_I0+16+0+0], v[vgprValuA_X0_I0+12+0+0], a[76:79]
 // Cr += Ar*Br
/*  mfmaIndex:101  */
/* sched write - iter 0 writesPerItem=1 */
s_waitcnt vmcnt(0)                                 // lgkmcnt=-1 vmcnt=0wait for global read before writing to local
_ds_store_b64 v[vgprLocalWriteAddrA], v[vgprG2LA+8:vgprG2LA+8+1] offset:9216 // lwoA_0_0_4_0 = (0*LSCA)*(MT0I+PAD) + (4*LSPA) = 9216
v_mfma_f32_16x16x4_f32 a[188+0:191+0], v[vgprValuB_X0_I0+16+0+0], v[vgprValuA_X0_I0+12+0+0+1], a[188:191]
 // Ci += Ai*Br
/*  mfmaIndex:102  */
_buffer_load_b64 v[vgprG2LA+8:vgprG2LA+8+1], v[vgprGlobalReadOffsetA+0], s[sgprSrdA:sgprSrdA+3], s[sgprScalarGlobalReadOffsetA+3], offen offset:0 // G -> Reg 0_0_4_0
v_mfma_f32_16x16x4_f32 a[76+0:79+0], v[vgprValuB_X0_I0+16+0+0+1], v141, a[76:79]
 // Cr += -Ai*Bi
/*  mfmaIndex:103  */
v_mfma_f32_16x16x4_f32 a[188+0:191+0], v[vgprValuB_X0_I0+16+0+0+1], v[vgprValuA_X0_I0+12+0+0], a[188:191]
 // Ci += Ar*Bi
/*  mfmaIndex:104  */
v_mfma_f32_16x16x4_f32 a[92+0:95+0], v[vgprValuB_X0_I0+20+0+0], v[vgprValuA_X0_I0+12+0+0], a[92:95]
 // Cr += Ar*Br
/*  mfmaIndex:105  */
v_mfma_f32_16x16x4_f32 a[204+0:207+0], v[vgprValuB_X0_I0+20+0+0], v[vgprValuA_X0_I0+12+0+0+1], a[204:207]
 // Ci += Ai*Br
/*  mfmaIndex:106  */
v_mfma_f32_16x16x4_f32 a[92+0:95+0], v[vgprValuB_X0_I0+20+0+0+1], v141, a[92:95]
 // Cr += -Ai*Bi
/*  mfmaIndex:107  */
v_mfma_f32_16x16x4_f32 a[204+0:207+0], v[vgprValuB_X0_I0+20+0+0+1], v[vgprValuA_X0_I0+12+0+0], a[204:207]
 // Ci += Ar*Bi
/*  mfmaIndex:108  */
v_mfma_f32_16x16x4_f32 a[108+0:111+0], v[vgprValuB_X0_I0+24+0+0], v[vgprValuA_X0_I0+12+0+0], a[108:111]
 // Cr += Ar*Br
/*  mfmaIndex:109  */
v_mfma_f32_16x16x4_f32 a[220+0:223+0], v[vgprValuB_X0_I0+24+0+0], v[vgprValuA_X0_I0+12+0+0+1], a[220:223]
 // Ci += Ai*Br
/*  mfmaIndex:110  */
v_mfma_f32_16x16x4_f32 a[108+0:111+0], v[vgprValuB_X0_I0+24+0+0+1], v141, a[108:111]
 // Cr += -Ai*Bi
/*  mfmaIndex:111  */
v_mfma_f32_16x16x4_f32 a[220+0:223+0], v[vgprValuB_X0_I0+24+0+0+1], v[vgprValuA_X0_I0+12+0+0], a[220:223]
 // Ci += Ar*Bi
/* numPrefetchIter=0 */
/* dataAtIterA=-1 numReadsIterA=1 skipReadsIterA=1 readsPerIterA=4 */
/* dataAtIterB=-1 numReadsIterB=1 skipReadsIterB=1 readsPerIterB=7 */


/* iter 1 */

/*  grEndMfmaIndex:6, lwStartMfmaIndex:29, lwEndMfmaIndex:430  */
/*  numMfmaForLR:15, barrierMfmaIndex:432, LocalWritePerMfma:0.055 */
/*  mfmaIndex:112  */
v_add_f32 v141, -v[vgprValuA_X0_I0+0+2+0+1], 0     // Ai=-Ai
v_mfma_f32_16x16x4_f32 a[0+0:3+0], v[vgprValuB_X0_I0+0+2+0], v[vgprValuA_X0_I0+0+2+0], a[0:3]
 // Cr += Ar*Br
/*  mfmaIndex:113  */
v_mfma_f32_16x16x4_f32 a[112+0:115+0], v[vgprValuB_X0_I0+0+2+0], v[vgprValuA_X0_I0+0+2+0+1], a[112:115]
 // Ci += Ai*Br
/*  mfmaIndex:114  */
v_mfma_f32_16x16x4_f32 a[0+0:3+0], v[vgprValuB_X0_I0+0+2+0+1], v141, a[0:3]
 // Cr += -Ai*Bi
/*  mfmaIndex:115  */
v_mfma_f32_16x16x4_f32 a[112+0:115+0], v[vgprValuB_X0_I0+0+2+0+1], v[vgprValuA_X0_I0+0+2+0], a[112:115]
 // Ci += Ar*Bi
/*  mfmaIndex:116  */
v_mfma_f32_16x16x4_f32 a[16+0:19+0], v[vgprValuB_X0_I0+4+2+0], v[vgprValuA_X0_I0+0+2+0], a[16:19]
 // Cr += Ar*Br
/*  mfmaIndex:117  */
v_mfma_f32_16x16x4_f32 a[128+0:131+0], v[vgprValuB_X0_I0+4+2+0], v[vgprValuA_X0_I0+0+2+0+1], a[128:131]
 // Ci += Ai*Br
/*  mfmaIndex:118  */
v_mfma_f32_16x16x4_f32 a[16+0:19+0], v[vgprValuB_X0_I0+4+2+0+1], v141, a[16:19]
 // Cr += -Ai*Bi
/*  mfmaIndex:119  */
/* sched write - iter 1 writesPerItem=1 */
s_waitcnt vmcnt(0)                                 // lgkmcnt=-1 vmcnt=0wait for global read before writing to local
_ds_store_b64 v[vgprLocalWriteAddrA], v[vgprG2LA+10:vgprG2LA+10+1] offset:11520 // lwoA_0_0_5_0 = (0*LSCA)*(MT0I+PAD) + (5*LSPA) = 11520
v_mfma_f32_16x16x4_f32 a[128+0:131+0], v[vgprValuB_X0_I0+4+2+0+1], v[vgprValuA_X0_I0+0+2+0], a[128:131]
 // Ci += Ar*Bi
/*  mfmaIndex:120  */
_buffer_load_b64 v[vgprG2LA+10:vgprG2LA+10+1], v[vgprGlobalReadOffsetA+0], s[sgprSrdA:sgprSrdA+3], s[sgprScalarGlobalReadOffsetA+4], offen offset:0 // G -> Reg 0_0_5_0
v_mfma_f32_16x16x4_f32 a[32+0:35+0], v[vgprValuB_X0_I0+8+2+0], v[vgprValuA_X0_I0+0+2+0], a[32:35]
 // Cr += Ar*Br
/*  mfmaIndex:121  */
v_mfma_f32_16x16x4_f32 a[144+0:147+0], v[vgprValuB_X0_I0+8+2+0], v[vgprValuA_X0_I0+0+2+0+1], a[144:147]
 // Ci += Ai*Br
/*  mfmaIndex:122  */
v_mfma_f32_16x16x4_f32 a[32+0:35+0], v[vgprValuB_X0_I0+8+2+0+1], v141, a[32:35]
 // Cr += -Ai*Bi
/*  mfmaIndex:123  */
v_mfma_f32_16x16x4_f32 a[144+0:147+0], v[vgprValuB_X0_I0+8+2+0+1], v[vgprValuA_X0_I0+0+2+0], a[144:147]
 // Ci += Ar*Bi
/*  mfmaIndex:124  */
v_mfma_f32_16x16x4_f32 a[48+0:51+0], v[vgprValuB_X0_I0+12+2+0], v[vgprValuA_X0_I0+0+2+0], a[48:51]
 // Cr += Ar*Br
/*  mfmaIndex:125  */
v_mfma_f32_16x16x4_f32 a[160+0:163+0], v[vgprValuB_X0_I0+12+2+0], v[vgprValuA_X0_I0+0+2+0+1], a[160:163]
 // Ci += Ai*Br
/*  mfmaIndex:126  */
v_mfma_f32_16x16x4_f32 a[48+0:51+0], v[vgprValuB_X0_I0+12+2+0+1], v141, a[48:51]
 // Cr += -Ai*Bi
/*  mfmaIndex:127  */
v_mfma_f32_16x16x4_f32 a[160+0:163+0], v[vgprValuB_X0_I0+12+2+0+1], v[vgprValuA_X0_I0+0+2+0], a[160:163]
 // Ci += Ar*Bi
/*  mfmaIndex:128  */
	;; [unrolled: 12-line block ×4, first 2 shown]
v_mfma_f32_16x16x4_f32 a[96+0:99+0], v[vgprValuB_X0_I0+24+2+0], v[vgprValuA_X0_I0+0+2+0], a[96:99]
 // Cr += Ar*Br
/*  mfmaIndex:137  */
v_mfma_f32_16x16x4_f32 a[208+0:211+0], v[vgprValuB_X0_I0+24+2+0], v[vgprValuA_X0_I0+0+2+0+1], a[208:211]
 // Ci += Ai*Br
/*  mfmaIndex:138  */
/* sched write - iter 1 writesPerItem=1 */
s_waitcnt vmcnt(0)                                 // lgkmcnt=-1 vmcnt=0wait for global read before writing to local
_ds_store_b64 v[vgprLocalWriteAddrA], v[vgprG2LA+12:vgprG2LA+12+1] offset:13824 // lwoA_0_0_6_0 = (0*LSCA)*(MT0I+PAD) + (6*LSPA) = 13824
v_mfma_f32_16x16x4_f32 a[96+0:99+0], v[vgprValuB_X0_I0+24+2+0+1], v141, a[96:99]
 // Cr += -Ai*Bi
/*  mfmaIndex:139  */
_buffer_load_b64 v[vgprG2LA+12:vgprG2LA+12+1], v[vgprGlobalReadOffsetA+0], s[sgprSrdA:sgprSrdA+3], s[sgprScalarGlobalReadOffsetA+5], offen offset:0 // G -> Reg 0_0_6_0
v_mfma_f32_16x16x4_f32 a[208+0:211+0], v[vgprValuB_X0_I0+24+2+0+1], v[vgprValuA_X0_I0+0+2+0], a[208:211]
 // Ci += Ar*Bi
/*  mfmaIndex:140  */
v_add_f32 v141, -v[vgprValuA_X0_I0+4+2+0+1], 0     // Ai=-Ai
v_mfma_f32_16x16x4_f32 a[4+0:7+0], v[vgprValuB_X0_I0+0+2+0], v[vgprValuA_X0_I0+4+2+0], a[4:7]
 // Cr += Ar*Br
/*  mfmaIndex:141  */
v_mfma_f32_16x16x4_f32 a[116+0:119+0], v[vgprValuB_X0_I0+0+2+0], v[vgprValuA_X0_I0+4+2+0+1], a[116:119]
 // Ci += Ai*Br
/*  mfmaIndex:142  */
v_mfma_f32_16x16x4_f32 a[4+0:7+0], v[vgprValuB_X0_I0+0+2+0+1], v141, a[4:7]
 // Cr += -Ai*Bi
/*  mfmaIndex:143  */
v_mfma_f32_16x16x4_f32 a[116+0:119+0], v[vgprValuB_X0_I0+0+2+0+1], v[vgprValuA_X0_I0+4+2+0], a[116:119]
 // Ci += Ar*Bi
/*  mfmaIndex:144  */
v_mfma_f32_16x16x4_f32 a[20+0:23+0], v[vgprValuB_X0_I0+4+2+0], v[vgprValuA_X0_I0+4+2+0], a[20:23]
 // Cr += Ar*Br
/*  mfmaIndex:145  */
v_mfma_f32_16x16x4_f32 a[132+0:135+0], v[vgprValuB_X0_I0+4+2+0], v[vgprValuA_X0_I0+4+2+0+1], a[132:135]
 // Ci += Ai*Br
/*  mfmaIndex:146  */
v_mfma_f32_16x16x4_f32 a[20+0:23+0], v[vgprValuB_X0_I0+4+2+0+1], v141, a[20:23]
 // Cr += -Ai*Bi
/*  mfmaIndex:147  */
v_mfma_f32_16x16x4_f32 a[132+0:135+0], v[vgprValuB_X0_I0+4+2+0+1], v[vgprValuA_X0_I0+4+2+0], a[132:135]
 // Ci += Ar*Bi
/*  mfmaIndex:148  */
	;; [unrolled: 12-line block ×4, first 2 shown]
/* sched write - iter 1 writesPerItem=1 */
s_waitcnt vmcnt(0)                                 // lgkmcnt=-1 vmcnt=0wait for global read before writing to local
_ds_store_b64 v[vgprLocalWriteAddrA], v[vgprG2LA+14:vgprG2LA+14+1] offset:16128 // lwoA_0_0_7_0 = (0*LSCA)*(MT0I+PAD) + (7*LSPA) = 16128
v_mfma_f32_16x16x4_f32 a[68+0:71+0], v[vgprValuB_X0_I0+16+2+0], v[vgprValuA_X0_I0+4+2+0], a[68:71]
 // Cr += Ar*Br
/*  mfmaIndex:157  */
_buffer_load_b64 v[vgprG2LA+14:vgprG2LA+14+1], v[vgprGlobalReadOffsetA+0], s[sgprSrdA:sgprSrdA+3], s[sgprScalarGlobalReadOffsetA+6], offen offset:0 // G -> Reg 0_0_7_0
v_mfma_f32_16x16x4_f32 a[180+0:183+0], v[vgprValuB_X0_I0+16+2+0], v[vgprValuA_X0_I0+4+2+0+1], a[180:183]
 // Ci += Ai*Br
/*  mfmaIndex:158  */
v_mfma_f32_16x16x4_f32 a[68+0:71+0], v[vgprValuB_X0_I0+16+2+0+1], v141, a[68:71]
 // Cr += -Ai*Bi
/*  mfmaIndex:159  */
v_mfma_f32_16x16x4_f32 a[180+0:183+0], v[vgprValuB_X0_I0+16+2+0+1], v[vgprValuA_X0_I0+4+2+0], a[180:183]
 // Ci += Ar*Bi
/*  mfmaIndex:160  */
v_mfma_f32_16x16x4_f32 a[84+0:87+0], v[vgprValuB_X0_I0+20+2+0], v[vgprValuA_X0_I0+4+2+0], a[84:87]
 // Cr += Ar*Br
/*  mfmaIndex:161  */
v_mfma_f32_16x16x4_f32 a[196+0:199+0], v[vgprValuB_X0_I0+20+2+0], v[vgprValuA_X0_I0+4+2+0+1], a[196:199]
 // Ci += Ai*Br
/*  mfmaIndex:162  */
v_mfma_f32_16x16x4_f32 a[84+0:87+0], v[vgprValuB_X0_I0+20+2+0+1], v141, a[84:87]
 // Cr += -Ai*Bi
/*  mfmaIndex:163  */
v_mfma_f32_16x16x4_f32 a[196+0:199+0], v[vgprValuB_X0_I0+20+2+0+1], v[vgprValuA_X0_I0+4+2+0], a[196:199]
 // Ci += Ar*Bi
/*  mfmaIndex:164  */
v_mfma_f32_16x16x4_f32 a[100+0:103+0], v[vgprValuB_X0_I0+24+2+0], v[vgprValuA_X0_I0+4+2+0], a[100:103]
 // Cr += Ar*Br
/*  mfmaIndex:165  */
v_mfma_f32_16x16x4_f32 a[212+0:215+0], v[vgprValuB_X0_I0+24+2+0], v[vgprValuA_X0_I0+4+2+0+1], a[212:215]
 // Ci += Ai*Br
/*  mfmaIndex:166  */
v_mfma_f32_16x16x4_f32 a[100+0:103+0], v[vgprValuB_X0_I0+24+2+0+1], v141, a[100:103]
 // Cr += -Ai*Bi
/*  mfmaIndex:167  */
v_mfma_f32_16x16x4_f32 a[212+0:215+0], v[vgprValuB_X0_I0+24+2+0+1], v[vgprValuA_X0_I0+4+2+0], a[212:215]
 // Ci += Ar*Bi
/*  mfmaIndex:168  */
v_add_f32 v141, -v[vgprValuA_X0_I0+8+2+0+1], 0     // Ai=-Ai
v_mfma_f32_16x16x4_f32 a[8+0:11+0], v[vgprValuB_X0_I0+0+2+0], v[vgprValuA_X0_I0+8+2+0], a[8:11]
 // Cr += Ar*Br
/*  mfmaIndex:169  */
v_mfma_f32_16x16x4_f32 a[120+0:123+0], v[vgprValuB_X0_I0+0+2+0], v[vgprValuA_X0_I0+8+2+0+1], a[120:123]
 // Ci += Ai*Br
/*  mfmaIndex:170  */
v_mfma_f32_16x16x4_f32 a[8+0:11+0], v[vgprValuB_X0_I0+0+2+0+1], v141, a[8:11]
 // Cr += -Ai*Bi
/*  mfmaIndex:171  */
v_mfma_f32_16x16x4_f32 a[120+0:123+0], v[vgprValuB_X0_I0+0+2+0+1], v[vgprValuA_X0_I0+8+2+0], a[120:123]
 // Ci += Ar*Bi
/*  mfmaIndex:172  */
v_mfma_f32_16x16x4_f32 a[24+0:27+0], v[vgprValuB_X0_I0+4+2+0], v[vgprValuA_X0_I0+8+2+0], a[24:27]
 // Cr += Ar*Br
/*  mfmaIndex:173  */
v_mfma_f32_16x16x4_f32 a[136+0:139+0], v[vgprValuB_X0_I0+4+2+0], v[vgprValuA_X0_I0+8+2+0+1], a[136:139]
 // Ci += Ai*Br
/*  mfmaIndex:174  */
/* sched write - iter 1 writesPerItem=1 */
s_waitcnt vmcnt(0)                                 // lgkmcnt=-1 vmcnt=0wait for global read before writing to local
_ds_store_b64 v[vgprLocalWriteAddrA], v[vgprG2LA+16:vgprG2LA+16+1] offset:18432 // lwoA_0_0_8_0 = (0*LSCA)*(MT0I+PAD) + (8*LSPA) = 18432
v_mfma_f32_16x16x4_f32 a[24+0:27+0], v[vgprValuB_X0_I0+4+2+0+1], v141, a[24:27]
 // Cr += -Ai*Bi
/*  mfmaIndex:175  */
_buffer_load_b64 v[vgprG2LA+16:vgprG2LA+16+1], v[vgprGlobalReadOffsetA+0], s[sgprSrdA:sgprSrdA+3], s[sgprScalarGlobalReadOffsetA+7], offen offset:0 // G -> Reg 0_0_8_0
v_mfma_f32_16x16x4_f32 a[136+0:139+0], v[vgprValuB_X0_I0+4+2+0+1], v[vgprValuA_X0_I0+8+2+0], a[136:139]
 // Ci += Ar*Bi
/*  mfmaIndex:176  */
v_mfma_f32_16x16x4_f32 a[40+0:43+0], v[vgprValuB_X0_I0+8+2+0], v[vgprValuA_X0_I0+8+2+0], a[40:43]
 // Cr += Ar*Br
/*  mfmaIndex:177  */
v_mfma_f32_16x16x4_f32 a[152+0:155+0], v[vgprValuB_X0_I0+8+2+0], v[vgprValuA_X0_I0+8+2+0+1], a[152:155]
 // Ci += Ai*Br
/*  mfmaIndex:178  */
v_mfma_f32_16x16x4_f32 a[40+0:43+0], v[vgprValuB_X0_I0+8+2+0+1], v141, a[40:43]
 // Cr += -Ai*Bi
/*  mfmaIndex:179  */
v_mfma_f32_16x16x4_f32 a[152+0:155+0], v[vgprValuB_X0_I0+8+2+0+1], v[vgprValuA_X0_I0+8+2+0], a[152:155]
 // Ci += Ar*Bi
/*  mfmaIndex:180  */
v_mfma_f32_16x16x4_f32 a[56+0:59+0], v[vgprValuB_X0_I0+12+2+0], v[vgprValuA_X0_I0+8+2+0], a[56:59]
 // Cr += Ar*Br
/*  mfmaIndex:181  */
v_mfma_f32_16x16x4_f32 a[168+0:171+0], v[vgprValuB_X0_I0+12+2+0], v[vgprValuA_X0_I0+8+2+0+1], a[168:171]
 // Ci += Ai*Br
/*  mfmaIndex:182  */
v_mfma_f32_16x16x4_f32 a[56+0:59+0], v[vgprValuB_X0_I0+12+2+0+1], v141, a[56:59]
 // Cr += -Ai*Bi
/*  mfmaIndex:183  */
	;; [unrolled: 12-line block ×4, first 2 shown]
v_mfma_f32_16x16x4_f32 a[200+0:203+0], v[vgprValuB_X0_I0+20+2+0+1], v[vgprValuA_X0_I0+8+2+0], a[200:203]
 // Ci += Ar*Bi
/*  mfmaIndex:192  */
/* sched write - iter 1 writesPerItem=1 */
s_waitcnt vmcnt(0)                                 // lgkmcnt=-1 vmcnt=0wait for global read before writing to local
_ds_store_b64 v[vgprLocalWriteAddrA], v[vgprG2LA+18:vgprG2LA+18+1] offset:20736 // lwoA_0_0_9_0 = (0*LSCA)*(MT0I+PAD) + (9*LSPA) = 20736
v_mfma_f32_16x16x4_f32 a[104+0:107+0], v[vgprValuB_X0_I0+24+2+0], v[vgprValuA_X0_I0+8+2+0], a[104:107]
 // Cr += Ar*Br
/*  mfmaIndex:193  */
_buffer_load_b64 v[vgprG2LA+18:vgprG2LA+18+1], v[vgprGlobalReadOffsetA+0], s[sgprSrdA:sgprSrdA+3], s[sgprScalarGlobalReadOffsetA+8], offen offset:0 // G -> Reg 0_0_9_0
v_mfma_f32_16x16x4_f32 a[216+0:219+0], v[vgprValuB_X0_I0+24+2+0], v[vgprValuA_X0_I0+8+2+0+1], a[216:219]
 // Ci += Ai*Br
/*  mfmaIndex:194  */
v_mfma_f32_16x16x4_f32 a[104+0:107+0], v[vgprValuB_X0_I0+24+2+0+1], v141, a[104:107]
 // Cr += -Ai*Bi
/*  mfmaIndex:195  */
v_mfma_f32_16x16x4_f32 a[216+0:219+0], v[vgprValuB_X0_I0+24+2+0+1], v[vgprValuA_X0_I0+8+2+0], a[216:219]
 // Ci += Ar*Bi
/*  mfmaIndex:196  */
v_add_f32 v141, -v[vgprValuA_X0_I0+12+2+0+1], 0    // Ai=-Ai
v_mfma_f32_16x16x4_f32 a[12+0:15+0], v[vgprValuB_X0_I0+0+2+0], v[vgprValuA_X0_I0+12+2+0], a[12:15]
 // Cr += Ar*Br
/*  mfmaIndex:197  */
v_mfma_f32_16x16x4_f32 a[124+0:127+0], v[vgprValuB_X0_I0+0+2+0], v[vgprValuA_X0_I0+12+2+0+1], a[124:127]
 // Ci += Ai*Br
/*  mfmaIndex:198  */
v_mfma_f32_16x16x4_f32 a[12+0:15+0], v[vgprValuB_X0_I0+0+2+0+1], v141, a[12:15]
 // Cr += -Ai*Bi
/*  mfmaIndex:199  */
v_mfma_f32_16x16x4_f32 a[124+0:127+0], v[vgprValuB_X0_I0+0+2+0+1], v[vgprValuA_X0_I0+12+2+0], a[124:127]
 // Ci += Ar*Bi
/*  mfmaIndex:200  */
v_mfma_f32_16x16x4_f32 a[28+0:31+0], v[vgprValuB_X0_I0+4+2+0], v[vgprValuA_X0_I0+12+2+0], a[28:31]
 // Cr += Ar*Br
/*  mfmaIndex:201  */
v_mfma_f32_16x16x4_f32 a[140+0:143+0], v[vgprValuB_X0_I0+4+2+0], v[vgprValuA_X0_I0+12+2+0+1], a[140:143]
 // Ci += Ai*Br
/*  mfmaIndex:202  */
v_mfma_f32_16x16x4_f32 a[28+0:31+0], v[vgprValuB_X0_I0+4+2+0+1], v141, a[28:31]
 // Cr += -Ai*Bi
/*  mfmaIndex:203  */
v_mfma_f32_16x16x4_f32 a[140+0:143+0], v[vgprValuB_X0_I0+4+2+0+1], v[vgprValuA_X0_I0+12+2+0], a[140:143]
 // Ci += Ar*Bi
/*  mfmaIndex:204  */
	;; [unrolled: 12-line block ×3, first 2 shown]
v_mfma_f32_16x16x4_f32 a[60+0:63+0], v[vgprValuB_X0_I0+12+2+0], v[vgprValuA_X0_I0+12+2+0], a[60:63]
 // Cr += Ar*Br
/*  mfmaIndex:209  */
v_mfma_f32_16x16x4_f32 a[172+0:175+0], v[vgprValuB_X0_I0+12+2+0], v[vgprValuA_X0_I0+12+2+0+1], a[172:175]
 // Ci += Ai*Br
/*  mfmaIndex:210  */
/* sched write - iter 1 writesPerItem=1 */
s_waitcnt vmcnt(0)                                 // lgkmcnt=-1 vmcnt=0wait for global read before writing to local
_ds_store_b64 v[vgprLocalWriteAddrA], v[vgprG2LA+20:vgprG2LA+20+1] offset:23040 // lwoA_0_0_10_0 = (0*LSCA)*(MT0I+PAD) + (10*LSPA) = 23040
v_mfma_f32_16x16x4_f32 a[60+0:63+0], v[vgprValuB_X0_I0+12+2+0+1], v141, a[60:63]
 // Cr += -Ai*Bi
/*  mfmaIndex:211  */
_buffer_load_b64 v[vgprG2LA+20:vgprG2LA+20+1], v[vgprGlobalReadOffsetA+0], s[sgprSrdA:sgprSrdA+3], s[sgprScalarGlobalReadOffsetA+9], offen offset:0 // G -> Reg 0_0_10_0
v_mfma_f32_16x16x4_f32 a[172+0:175+0], v[vgprValuB_X0_I0+12+2+0+1], v[vgprValuA_X0_I0+12+2+0], a[172:175]
 // Ci += Ar*Bi
/*  mfmaIndex:212  */
v_mfma_f32_16x16x4_f32 a[76+0:79+0], v[vgprValuB_X0_I0+16+2+0], v[vgprValuA_X0_I0+12+2+0], a[76:79]
 // Cr += Ar*Br
/*  mfmaIndex:213  */
v_mfma_f32_16x16x4_f32 a[188+0:191+0], v[vgprValuB_X0_I0+16+2+0], v[vgprValuA_X0_I0+12+2+0+1], a[188:191]
 // Ci += Ai*Br
/*  mfmaIndex:214  */
v_mfma_f32_16x16x4_f32 a[76+0:79+0], v[vgprValuB_X0_I0+16+2+0+1], v141, a[76:79]
 // Cr += -Ai*Bi
/*  mfmaIndex:215  */
v_mfma_f32_16x16x4_f32 a[188+0:191+0], v[vgprValuB_X0_I0+16+2+0+1], v[vgprValuA_X0_I0+12+2+0], a[188:191]
 // Ci += Ar*Bi
/*  mfmaIndex:216  */
v_mfma_f32_16x16x4_f32 a[92+0:95+0], v[vgprValuB_X0_I0+20+2+0], v[vgprValuA_X0_I0+12+2+0], a[92:95]
 // Cr += Ar*Br
/*  mfmaIndex:217  */
v_mfma_f32_16x16x4_f32 a[204+0:207+0], v[vgprValuB_X0_I0+20+2+0], v[vgprValuA_X0_I0+12+2+0+1], a[204:207]
 // Ci += Ai*Br
/*  mfmaIndex:218  */
v_mfma_f32_16x16x4_f32 a[92+0:95+0], v[vgprValuB_X0_I0+20+2+0+1], v141, a[92:95]
 // Cr += -Ai*Bi
/*  mfmaIndex:219  */
	;; [unrolled: 12-line block ×3, first 2 shown]
v_mfma_f32_16x16x4_f32 a[220+0:223+0], v[vgprValuB_X0_I0+24+2+0+1], v[vgprValuA_X0_I0+12+2+0], a[220:223]
 // Ci += Ar*Bi


/* iter 2 (reset local read pointers iteration)  (swap local read pointers iteration)  */

/*  grEndMfmaIndex:6, lwStartMfmaIndex:29, lwEndMfmaIndex:430  */
/*  numMfmaForLR:15, barrierMfmaIndex:432, LocalWritePerMfma:0.055 */
/*  mfmaIndex:224  */
v_add_f32 v141, -v[vgprValuA_X2_I0+0+0+0+1], 0     // Ai=-Ai
v_mfma_f32_16x16x4_f32 a[0+0:3+0], v[vgprValuB_X2_I0+0+0+0], v[vgprValuA_X2_I0+0+0+0], a[0:3]
 // Cr += Ar*Br
/*  mfmaIndex:225  */
v_mfma_f32_16x16x4_f32 a[112+0:115+0], v[vgprValuB_X2_I0+0+0+0], v[vgprValuA_X2_I0+0+0+0+1], a[112:115]
 // Ci += Ai*Br
/*  mfmaIndex:226  */
v_mfma_f32_16x16x4_f32 a[0+0:3+0], v[vgprValuB_X2_I0+0+0+0+1], v141, a[0:3]
 // Cr += -Ai*Bi
/*  mfmaIndex:227  */
v_mfma_f32_16x16x4_f32 a[112+0:115+0], v[vgprValuB_X2_I0+0+0+0+1], v[vgprValuA_X2_I0+0+0+0], a[112:115]
 // Ci += Ar*Bi
/*  mfmaIndex:228  */
v_mfma_f32_16x16x4_f32 a[16+0:19+0], v[vgprValuB_X2_I0+4+0+0], v[vgprValuA_X2_I0+0+0+0], a[16:19]
 // Cr += Ar*Br
/*  mfmaIndex:229  */
/* sched write - iter 2 writesPerItem=1 */
s_waitcnt vmcnt(0)                                 // lgkmcnt=-1 vmcnt=0wait for global read before writing to local
_ds_store_b64 v[vgprLocalWriteAddrA], v[vgprG2LA+22:vgprG2LA+22+1] offset:25344 // lwoA_0_0_11_0 = (0*LSCA)*(MT0I+PAD) + (11*LSPA) = 25344
v_mfma_f32_16x16x4_f32 a[128+0:131+0], v[vgprValuB_X2_I0+4+0+0], v[vgprValuA_X2_I0+0+0+0+1], a[128:131]
 // Ci += Ai*Br
/*  mfmaIndex:230  */
_buffer_load_b64 v[vgprG2LA+22:vgprG2LA+22+1], v[vgprGlobalReadOffsetA+0], s[sgprSrdA:sgprSrdA+3], s[sgprScalarGlobalReadOffsetA+10], offen offset:0 // G -> Reg 0_0_11_0
v_mfma_f32_16x16x4_f32 a[16+0:19+0], v[vgprValuB_X2_I0+4+0+0+1], v141, a[16:19]
 // Cr += -Ai*Bi
/*  mfmaIndex:231  */
v_mfma_f32_16x16x4_f32 a[128+0:131+0], v[vgprValuB_X2_I0+4+0+0+1], v[vgprValuA_X2_I0+0+0+0], a[128:131]
 // Ci += Ar*Bi
/*  mfmaIndex:232  */
v_mfma_f32_16x16x4_f32 a[32+0:35+0], v[vgprValuB_X2_I0+8+0+0], v[vgprValuA_X2_I0+0+0+0], a[32:35]
 // Cr += Ar*Br
/*  mfmaIndex:233  */
v_mfma_f32_16x16x4_f32 a[144+0:147+0], v[vgprValuB_X2_I0+8+0+0], v[vgprValuA_X2_I0+0+0+0+1], a[144:147]
 // Ci += Ai*Br
/*  mfmaIndex:234  */
v_mfma_f32_16x16x4_f32 a[32+0:35+0], v[vgprValuB_X2_I0+8+0+0+1], v141, a[32:35]
 // Cr += -Ai*Bi
/*  mfmaIndex:235  */
v_mfma_f32_16x16x4_f32 a[144+0:147+0], v[vgprValuB_X2_I0+8+0+0+1], v[vgprValuA_X2_I0+0+0+0], a[144:147]
 // Ci += Ar*Bi
/*  mfmaIndex:236  */
v_mfma_f32_16x16x4_f32 a[48+0:51+0], v[vgprValuB_X2_I0+12+0+0], v[vgprValuA_X2_I0+0+0+0], a[48:51]
 // Cr += Ar*Br
/*  mfmaIndex:237  */
v_mfma_f32_16x16x4_f32 a[160+0:163+0], v[vgprValuB_X2_I0+12+0+0], v[vgprValuA_X2_I0+0+0+0+1], a[160:163]
 // Ci += Ai*Br
/*  mfmaIndex:238  */
	;; [unrolled: 12-line block ×4, first 2 shown]
v_mfma_f32_16x16x4_f32 a[80+0:83+0], v[vgprValuB_X2_I0+20+0+0+1], v141, a[80:83]
 // Cr += -Ai*Bi
/*  mfmaIndex:247  */
/* sched write - iter 2 writesPerItem=1 */
s_waitcnt vmcnt(0)                                 // lgkmcnt=-1 vmcnt=0wait for global read before writing to local
_ds_store_b64 v[vgprLocalWriteAddrA], v[vgprG2LA+24:vgprG2LA+24+1] offset:27648 // lwoA_0_0_12_0 = (0*LSCA)*(MT0I+PAD) + (12*LSPA) = 27648
v_mfma_f32_16x16x4_f32 a[192+0:195+0], v[vgprValuB_X2_I0+20+0+0+1], v[vgprValuA_X2_I0+0+0+0], a[192:195]
 // Ci += Ar*Bi
/*  mfmaIndex:248  */
_buffer_load_b64 v[vgprG2LA+24:vgprG2LA+24+1], v[vgprGlobalReadOffsetA+0], s[sgprSrdA:sgprSrdA+3], s[sgprScalarGlobalReadOffsetA+11], offen offset:0 // G -> Reg 0_0_12_0
v_mfma_f32_16x16x4_f32 a[96+0:99+0], v[vgprValuB_X2_I0+24+0+0], v[vgprValuA_X2_I0+0+0+0], a[96:99]
 // Cr += Ar*Br
/*  mfmaIndex:249  */
v_mfma_f32_16x16x4_f32 a[208+0:211+0], v[vgprValuB_X2_I0+24+0+0], v[vgprValuA_X2_I0+0+0+0+1], a[208:211]
 // Ci += Ai*Br
/*  mfmaIndex:250  */
v_mfma_f32_16x16x4_f32 a[96+0:99+0], v[vgprValuB_X2_I0+24+0+0+1], v141, a[96:99]
 // Cr += -Ai*Bi
/*  mfmaIndex:251  */
v_mfma_f32_16x16x4_f32 a[208+0:211+0], v[vgprValuB_X2_I0+24+0+0+1], v[vgprValuA_X2_I0+0+0+0], a[208:211]
 // Ci += Ar*Bi
/*  mfmaIndex:252  */
v_add_f32 v141, -v[vgprValuA_X2_I0+4+0+0+1], 0     // Ai=-Ai
v_mfma_f32_16x16x4_f32 a[4+0:7+0], v[vgprValuB_X2_I0+0+0+0], v[vgprValuA_X2_I0+4+0+0], a[4:7]
 // Cr += Ar*Br
/*  mfmaIndex:253  */
v_mfma_f32_16x16x4_f32 a[116+0:119+0], v[vgprValuB_X2_I0+0+0+0], v[vgprValuA_X2_I0+4+0+0+1], a[116:119]
 // Ci += Ai*Br
/*  mfmaIndex:254  */
v_mfma_f32_16x16x4_f32 a[4+0:7+0], v[vgprValuB_X2_I0+0+0+0+1], v141, a[4:7]
 // Cr += -Ai*Bi
/*  mfmaIndex:255  */
v_mfma_f32_16x16x4_f32 a[116+0:119+0], v[vgprValuB_X2_I0+0+0+0+1], v[vgprValuA_X2_I0+4+0+0], a[116:119]
 // Ci += Ar*Bi
/*  mfmaIndex:256  */
v_mfma_f32_16x16x4_f32 a[20+0:23+0], v[vgprValuB_X2_I0+4+0+0], v[vgprValuA_X2_I0+4+0+0], a[20:23]
 // Cr += Ar*Br
/*  mfmaIndex:257  */
v_mfma_f32_16x16x4_f32 a[132+0:135+0], v[vgprValuB_X2_I0+4+0+0], v[vgprValuA_X2_I0+4+0+0+1], a[132:135]
 // Ci += Ai*Br
/*  mfmaIndex:258  */
v_mfma_f32_16x16x4_f32 a[20+0:23+0], v[vgprValuB_X2_I0+4+0+0+1], v141, a[20:23]
 // Cr += -Ai*Bi
/*  mfmaIndex:259  */
v_mfma_f32_16x16x4_f32 a[132+0:135+0], v[vgprValuB_X2_I0+4+0+0+1], v[vgprValuA_X2_I0+4+0+0], a[132:135]
 // Ci += Ar*Bi
/*  mfmaIndex:260  */
	;; [unrolled: 12-line block ×3, first 2 shown]
v_mfma_f32_16x16x4_f32 a[52+0:55+0], v[vgprValuB_X2_I0+12+0+0], v[vgprValuA_X2_I0+4+0+0], a[52:55]
 // Cr += Ar*Br
/*  mfmaIndex:265  */
/* sched write - iter 2 writesPerItem=1 */
s_waitcnt vmcnt(0)                                 // lgkmcnt=-1 vmcnt=0wait for global read before writing to local
_ds_store_b64 v[vgprLocalWriteAddrA], v[vgprG2LA+26:vgprG2LA+26+1] offset:29952 // lwoA_0_0_13_0 = (0*LSCA)*(MT0I+PAD) + (13*LSPA) = 29952
v_mfma_f32_16x16x4_f32 a[164+0:167+0], v[vgprValuB_X2_I0+12+0+0], v[vgprValuA_X2_I0+4+0+0+1], a[164:167]
 // Ci += Ai*Br
/*  mfmaIndex:266  */
_buffer_load_b64 v[vgprG2LA+26:vgprG2LA+26+1], v[vgprGlobalReadOffsetA+0], s[sgprSrdA:sgprSrdA+3], s[sgprScalarGlobalReadOffsetA+12], offen offset:0 // G -> Reg 0_0_13_0
v_mfma_f32_16x16x4_f32 a[52+0:55+0], v[vgprValuB_X2_I0+12+0+0+1], v141, a[52:55]
 // Cr += -Ai*Bi
/*  mfmaIndex:267  */
v_mfma_f32_16x16x4_f32 a[164+0:167+0], v[vgprValuB_X2_I0+12+0+0+1], v[vgprValuA_X2_I0+4+0+0], a[164:167]
 // Ci += Ar*Bi
/*  mfmaIndex:268  */
v_mfma_f32_16x16x4_f32 a[68+0:71+0], v[vgprValuB_X2_I0+16+0+0], v[vgprValuA_X2_I0+4+0+0], a[68:71]
 // Cr += Ar*Br
/*  mfmaIndex:269  */
v_mfma_f32_16x16x4_f32 a[180+0:183+0], v[vgprValuB_X2_I0+16+0+0], v[vgprValuA_X2_I0+4+0+0+1], a[180:183]
 // Ci += Ai*Br
/*  mfmaIndex:270  */
v_mfma_f32_16x16x4_f32 a[68+0:71+0], v[vgprValuB_X2_I0+16+0+0+1], v141, a[68:71]
 // Cr += -Ai*Bi
/*  mfmaIndex:271  */
v_mfma_f32_16x16x4_f32 a[180+0:183+0], v[vgprValuB_X2_I0+16+0+0+1], v[vgprValuA_X2_I0+4+0+0], a[180:183]
 // Ci += Ar*Bi
/*  mfmaIndex:272  */
v_mfma_f32_16x16x4_f32 a[84+0:87+0], v[vgprValuB_X2_I0+20+0+0], v[vgprValuA_X2_I0+4+0+0], a[84:87]
 // Cr += Ar*Br
/*  mfmaIndex:273  */
v_mfma_f32_16x16x4_f32 a[196+0:199+0], v[vgprValuB_X2_I0+20+0+0], v[vgprValuA_X2_I0+4+0+0+1], a[196:199]
 // Ci += Ai*Br
/*  mfmaIndex:274  */
v_mfma_f32_16x16x4_f32 a[84+0:87+0], v[vgprValuB_X2_I0+20+0+0+1], v141, a[84:87]
 // Cr += -Ai*Bi
/*  mfmaIndex:275  */
v_mfma_f32_16x16x4_f32 a[196+0:199+0], v[vgprValuB_X2_I0+20+0+0+1], v[vgprValuA_X2_I0+4+0+0], a[196:199]
 // Ci += Ar*Bi
/*  mfmaIndex:276  */
v_mfma_f32_16x16x4_f32 a[100+0:103+0], v[vgprValuB_X2_I0+24+0+0], v[vgprValuA_X2_I0+4+0+0], a[100:103]
 // Cr += Ar*Br
/*  mfmaIndex:277  */
v_mfma_f32_16x16x4_f32 a[212+0:215+0], v[vgprValuB_X2_I0+24+0+0], v[vgprValuA_X2_I0+4+0+0+1], a[212:215]
 // Ci += Ai*Br
/*  mfmaIndex:278  */
v_mfma_f32_16x16x4_f32 a[100+0:103+0], v[vgprValuB_X2_I0+24+0+0+1], v141, a[100:103]
 // Cr += -Ai*Bi
/*  mfmaIndex:279  */
v_mfma_f32_16x16x4_f32 a[212+0:215+0], v[vgprValuB_X2_I0+24+0+0+1], v[vgprValuA_X2_I0+4+0+0], a[212:215]
 // Ci += Ar*Bi
/*  mfmaIndex:280  */
v_add_f32 v141, -v[vgprValuA_X2_I0+8+0+0+1], 0     // Ai=-Ai
v_mfma_f32_16x16x4_f32 a[8+0:11+0], v[vgprValuB_X2_I0+0+0+0], v[vgprValuA_X2_I0+8+0+0], a[8:11]
 // Cr += Ar*Br
/*  mfmaIndex:281  */
v_mfma_f32_16x16x4_f32 a[120+0:123+0], v[vgprValuB_X2_I0+0+0+0], v[vgprValuA_X2_I0+8+0+0+1], a[120:123]
 // Ci += Ai*Br
/*  mfmaIndex:282  */
v_mfma_f32_16x16x4_f32 a[8+0:11+0], v[vgprValuB_X2_I0+0+0+0+1], v141, a[8:11]
 // Cr += -Ai*Bi
/*  mfmaIndex:283  */
/* sched write - iter 2 writesPerItem=1 */
s_waitcnt vmcnt(0)                                 // lgkmcnt=-1 vmcnt=0wait for global read before writing to local
_ds_store_b64 v[vgprLocalWriteAddrA], v[vgprG2LA+28:vgprG2LA+28+1] offset:32256 // lwoA_0_0_14_0 = (0*LSCA)*(MT0I+PAD) + (14*LSPA) = 32256
v_mfma_f32_16x16x4_f32 a[120+0:123+0], v[vgprValuB_X2_I0+0+0+0+1], v[vgprValuA_X2_I0+8+0+0], a[120:123]
 // Ci += Ar*Bi
/*  mfmaIndex:284  */
_buffer_load_b64 v[vgprG2LA+28:vgprG2LA+28+1], v[vgprGlobalReadOffsetA+0], s[sgprSrdA:sgprSrdA+3], s[sgprScalarGlobalReadOffsetA+13], offen offset:0 // G -> Reg 0_0_14_0
v_mfma_f32_16x16x4_f32 a[24+0:27+0], v[vgprValuB_X2_I0+4+0+0], v[vgprValuA_X2_I0+8+0+0], a[24:27]
 // Cr += Ar*Br
/*  mfmaIndex:285  */
v_mfma_f32_16x16x4_f32 a[136+0:139+0], v[vgprValuB_X2_I0+4+0+0], v[vgprValuA_X2_I0+8+0+0+1], a[136:139]
 // Ci += Ai*Br
/*  mfmaIndex:286  */
v_mfma_f32_16x16x4_f32 a[24+0:27+0], v[vgprValuB_X2_I0+4+0+0+1], v141, a[24:27]
 // Cr += -Ai*Bi
/*  mfmaIndex:287  */
v_mfma_f32_16x16x4_f32 a[136+0:139+0], v[vgprValuB_X2_I0+4+0+0+1], v[vgprValuA_X2_I0+8+0+0], a[136:139]
 // Ci += Ar*Bi
/*  mfmaIndex:288  */
v_mfma_f32_16x16x4_f32 a[40+0:43+0], v[vgprValuB_X2_I0+8+0+0], v[vgprValuA_X2_I0+8+0+0], a[40:43]
 // Cr += Ar*Br
/*  mfmaIndex:289  */
v_mfma_f32_16x16x4_f32 a[152+0:155+0], v[vgprValuB_X2_I0+8+0+0], v[vgprValuA_X2_I0+8+0+0+1], a[152:155]
 // Ci += Ai*Br
/*  mfmaIndex:290  */
v_mfma_f32_16x16x4_f32 a[40+0:43+0], v[vgprValuB_X2_I0+8+0+0+1], v141, a[40:43]
 // Cr += -Ai*Bi
/*  mfmaIndex:291  */
v_mfma_f32_16x16x4_f32 a[152+0:155+0], v[vgprValuB_X2_I0+8+0+0+1], v[vgprValuA_X2_I0+8+0+0], a[152:155]
 // Ci += Ar*Bi
/*  mfmaIndex:292  */
	;; [unrolled: 12-line block ×4, first 2 shown]
v_mfma_f32_16x16x4_f32 a[88+0:91+0], v[vgprValuB_X2_I0+20+0+0], v[vgprValuA_X2_I0+8+0+0], a[88:91]
 // Cr += Ar*Br
/*  mfmaIndex:301  */
/* sched write - iter 2 writesPerItem=1 */
s_waitcnt vmcnt(0)                                 // lgkmcnt=-1 vmcnt=0wait for global read before writing to local
_ds_store_b64 v[vgprLocalWriteAddrA], v[vgprG2LA+30:vgprG2LA+30+1] offset:34560 // lwoA_0_0_15_0 = (0*LSCA)*(MT0I+PAD) + (15*LSPA) = 34560
v_mfma_f32_16x16x4_f32 a[200+0:203+0], v[vgprValuB_X2_I0+20+0+0], v[vgprValuA_X2_I0+8+0+0+1], a[200:203]
 // Ci += Ai*Br
/*  mfmaIndex:302  */
_buffer_load_b64 v[vgprG2LA+30:vgprG2LA+30+1], v[vgprGlobalReadOffsetA+0], s[sgprSrdA:sgprSrdA+3], s[sgprScalarGlobalReadOffsetA+14], offen offset:0 // G -> Reg 0_0_15_0
v_mfma_f32_16x16x4_f32 a[88+0:91+0], v[vgprValuB_X2_I0+20+0+0+1], v141, a[88:91]
 // Cr += -Ai*Bi
/*  mfmaIndex:303  */
v_mfma_f32_16x16x4_f32 a[200+0:203+0], v[vgprValuB_X2_I0+20+0+0+1], v[vgprValuA_X2_I0+8+0+0], a[200:203]
 // Ci += Ar*Bi
/*  mfmaIndex:304  */
v_mfma_f32_16x16x4_f32 a[104+0:107+0], v[vgprValuB_X2_I0+24+0+0], v[vgprValuA_X2_I0+8+0+0], a[104:107]
 // Cr += Ar*Br
/*  mfmaIndex:305  */
v_mfma_f32_16x16x4_f32 a[216+0:219+0], v[vgprValuB_X2_I0+24+0+0], v[vgprValuA_X2_I0+8+0+0+1], a[216:219]
 // Ci += Ai*Br
/*  mfmaIndex:306  */
v_mfma_f32_16x16x4_f32 a[104+0:107+0], v[vgprValuB_X2_I0+24+0+0+1], v141, a[104:107]
 // Cr += -Ai*Bi
/*  mfmaIndex:307  */
v_mfma_f32_16x16x4_f32 a[216+0:219+0], v[vgprValuB_X2_I0+24+0+0+1], v[vgprValuA_X2_I0+8+0+0], a[216:219]
 // Ci += Ar*Bi
/*  mfmaIndex:308  */
v_add_f32 v141, -v[vgprValuA_X2_I0+12+0+0+1], 0    // Ai=-Ai
v_mfma_f32_16x16x4_f32 a[12+0:15+0], v[vgprValuB_X2_I0+0+0+0], v[vgprValuA_X2_I0+12+0+0], a[12:15]
 // Cr += Ar*Br
/*  mfmaIndex:309  */
v_mfma_f32_16x16x4_f32 a[124+0:127+0], v[vgprValuB_X2_I0+0+0+0], v[vgprValuA_X2_I0+12+0+0+1], a[124:127]
 // Ci += Ai*Br
/*  mfmaIndex:310  */
v_mfma_f32_16x16x4_f32 a[12+0:15+0], v[vgprValuB_X2_I0+0+0+0+1], v141, a[12:15]
 // Cr += -Ai*Bi
/*  mfmaIndex:311  */
v_mfma_f32_16x16x4_f32 a[124+0:127+0], v[vgprValuB_X2_I0+0+0+0+1], v[vgprValuA_X2_I0+12+0+0], a[124:127]
 // Ci += Ar*Bi
/*  mfmaIndex:312  */
v_mfma_f32_16x16x4_f32 a[28+0:31+0], v[vgprValuB_X2_I0+4+0+0], v[vgprValuA_X2_I0+12+0+0], a[28:31]
 // Cr += Ar*Br
/*  mfmaIndex:313  */
v_mfma_f32_16x16x4_f32 a[140+0:143+0], v[vgprValuB_X2_I0+4+0+0], v[vgprValuA_X2_I0+12+0+0+1], a[140:143]
 // Ci += Ai*Br
/*  mfmaIndex:314  */
v_mfma_f32_16x16x4_f32 a[28+0:31+0], v[vgprValuB_X2_I0+4+0+0+1], v141, a[28:31]
 // Cr += -Ai*Bi
/*  mfmaIndex:315  */
v_mfma_f32_16x16x4_f32 a[140+0:143+0], v[vgprValuB_X2_I0+4+0+0+1], v[vgprValuA_X2_I0+12+0+0], a[140:143]
 // Ci += Ar*Bi
/*  mfmaIndex:316  */
v_mfma_f32_16x16x4_f32 a[44+0:47+0], v[vgprValuB_X2_I0+8+0+0], v[vgprValuA_X2_I0+12+0+0], a[44:47]
 // Cr += Ar*Br
/*  mfmaIndex:317  */
v_mfma_f32_16x16x4_f32 a[156+0:159+0], v[vgprValuB_X2_I0+8+0+0], v[vgprValuA_X2_I0+12+0+0+1], a[156:159]
 // Ci += Ai*Br
/*  mfmaIndex:318  */
v_mfma_f32_16x16x4_f32 a[44+0:47+0], v[vgprValuB_X2_I0+8+0+0+1], v141, a[44:47]
 // Cr += -Ai*Bi
/*  mfmaIndex:319  */
/* sched write - iter 2 writesPerItem=1 */
s_waitcnt vmcnt(0)                                 // lgkmcnt=-1 vmcnt=0wait for global read before writing to local
_ds_store_b64 v[vgprLocalWriteAddrB], v[vgprG2LB+0:vgprG2LB+0+1] offset:0 // lwoB_0_0_0_0 = (0*LSCB)*(MT1J+PAD) + (0*LSPB) = 0
v_mfma_f32_16x16x4_f32 a[156+0:159+0], v[vgprValuB_X2_I0+8+0+0+1], v[vgprValuA_X2_I0+12+0+0], a[156:159]
 // Ci += Ar*Bi
/*  mfmaIndex:320  */
_buffer_load_b64 v[vgprG2LB+0:vgprG2LB+0+1], v[vgprGlobalReadOffsetB+0], s[sgprSrdB:sgprSrdB+3], 0, offen offset:0 // G -> Reg 0_0_0_0
v_mfma_f32_16x16x4_f32 a[60+0:63+0], v[vgprValuB_X2_I0+12+0+0], v[vgprValuA_X2_I0+12+0+0], a[60:63]
 // Cr += Ar*Br
/*  mfmaIndex:321  */
v_mfma_f32_16x16x4_f32 a[172+0:175+0], v[vgprValuB_X2_I0+12+0+0], v[vgprValuA_X2_I0+12+0+0+1], a[172:175]
 // Ci += Ai*Br
/*  mfmaIndex:322  */
v_mfma_f32_16x16x4_f32 a[60+0:63+0], v[vgprValuB_X2_I0+12+0+0+1], v141, a[60:63]
 // Cr += -Ai*Bi
/*  mfmaIndex:323  */
v_mfma_f32_16x16x4_f32 a[172+0:175+0], v[vgprValuB_X2_I0+12+0+0+1], v[vgprValuA_X2_I0+12+0+0], a[172:175]
 // Ci += Ar*Bi
/*  mfmaIndex:324  */
v_mfma_f32_16x16x4_f32 a[76+0:79+0], v[vgprValuB_X2_I0+16+0+0], v[vgprValuA_X2_I0+12+0+0], a[76:79]
 // Cr += Ar*Br
/*  mfmaIndex:325  */
v_mfma_f32_16x16x4_f32 a[188+0:191+0], v[vgprValuB_X2_I0+16+0+0], v[vgprValuA_X2_I0+12+0+0+1], a[188:191]
 // Ci += Ai*Br
/*  mfmaIndex:326  */
v_mfma_f32_16x16x4_f32 a[76+0:79+0], v[vgprValuB_X2_I0+16+0+0+1], v141, a[76:79]
 // Cr += -Ai*Bi
/*  mfmaIndex:327  */
v_mfma_f32_16x16x4_f32 a[188+0:191+0], v[vgprValuB_X2_I0+16+0+0+1], v[vgprValuA_X2_I0+12+0+0], a[188:191]
 // Ci += Ar*Bi
/*  mfmaIndex:328  */
v_mfma_f32_16x16x4_f32 a[92+0:95+0], v[vgprValuB_X2_I0+20+0+0], v[vgprValuA_X2_I0+12+0+0], a[92:95]
 // Cr += Ar*Br
/*  mfmaIndex:329  */
v_mfma_f32_16x16x4_f32 a[204+0:207+0], v[vgprValuB_X2_I0+20+0+0], v[vgprValuA_X2_I0+12+0+0+1], a[204:207]
 // Ci += Ai*Br
/*  mfmaIndex:330  */
v_mfma_f32_16x16x4_f32 a[92+0:95+0], v[vgprValuB_X2_I0+20+0+0+1], v141, a[92:95]
 // Cr += -Ai*Bi
/*  mfmaIndex:331  */
v_mfma_f32_16x16x4_f32 a[204+0:207+0], v[vgprValuB_X2_I0+20+0+0+1], v[vgprValuA_X2_I0+12+0+0], a[204:207]
 // Ci += Ar*Bi
/*  mfmaIndex:332  */
v_mfma_f32_16x16x4_f32 a[108+0:111+0], v[vgprValuB_X2_I0+24+0+0], v[vgprValuA_X2_I0+12+0+0], a[108:111]
 // Cr += Ar*Br
/*  mfmaIndex:333  */
v_mfma_f32_16x16x4_f32 a[220+0:223+0], v[vgprValuB_X2_I0+24+0+0], v[vgprValuA_X2_I0+12+0+0+1], a[220:223]
 // Ci += Ai*Br
/*  mfmaIndex:334  */
v_mfma_f32_16x16x4_f32 a[108+0:111+0], v[vgprValuB_X2_I0+24+0+0+1], v141, a[108:111]
 // Cr += -Ai*Bi
/*  mfmaIndex:335  */

/* local read swap offsets a */

/* local read swap offsets b */

/* local read init pointers a */

/* localReadInitPointers */

/* local read init pointers b */

/* localReadInitPointers */
v_mfma_f32_16x16x4_f32 a[220+0:223+0], v[vgprValuB_X2_I0+24+0+0+1], v[vgprValuA_X2_I0+12+0+0], a[220:223]
 // Ci += Ar*Bi


/* iter 3 (swap and reset local write pointers iteration)  */

/*  grEndMfmaIndex:6, lwStartMfmaIndex:29, lwEndMfmaIndex:430  */
/*  numMfmaForLR:15, barrierMfmaIndex:432, LocalWritePerMfma:0.055 */
/*  mfmaIndex:336  */
v_add_f32 v141, -v[vgprValuA_X2_I0+0+2+0+1], 0     // Ai=-Ai
v_mfma_f32_16x16x4_f32 a[0+0:3+0], v[vgprValuB_X2_I0+0+2+0], v[vgprValuA_X2_I0+0+2+0], a[0:3]
 // Cr += Ar*Br
/*  mfmaIndex:337  */
v_mfma_f32_16x16x4_f32 a[112+0:115+0], v[vgprValuB_X2_I0+0+2+0], v[vgprValuA_X2_I0+0+2+0+1], a[112:115]
 // Ci += Ai*Br
/*  mfmaIndex:338  */
/* sched write - iter 3 writesPerItem=1 */
s_waitcnt vmcnt(0)                                 // lgkmcnt=-1 vmcnt=0wait for global read before writing to local
_ds_store_b64 v[vgprLocalWriteAddrB], v[vgprG2LB+2:vgprG2LB+2+1] offset:2560 // lwoB_0_0_1_0 = (0*LSCB)*(MT1J+PAD) + (1*LSPB) = 2560
v_mfma_f32_16x16x4_f32 a[0+0:3+0], v[vgprValuB_X2_I0+0+2+0+1], v141, a[0:3]
 // Cr += -Ai*Bi
/*  mfmaIndex:339  */
_buffer_load_b64 v[vgprG2LB+2:vgprG2LB+2+1], v[vgprGlobalReadOffsetB+0], s[sgprSrdB:sgprSrdB+3], s[sgprScalarGlobalReadOffsetB+0], offen offset:0 // G -> Reg 0_0_1_0
v_mfma_f32_16x16x4_f32 a[112+0:115+0], v[vgprValuB_X2_I0+0+2+0+1], v[vgprValuA_X2_I0+0+2+0], a[112:115]
 // Ci += Ar*Bi
/*  mfmaIndex:340  */
v_mfma_f32_16x16x4_f32 a[16+0:19+0], v[vgprValuB_X2_I0+4+2+0], v[vgprValuA_X2_I0+0+2+0], a[16:19]
 // Cr += Ar*Br
/*  mfmaIndex:341  */
v_mfma_f32_16x16x4_f32 a[128+0:131+0], v[vgprValuB_X2_I0+4+2+0], v[vgprValuA_X2_I0+0+2+0+1], a[128:131]
 // Ci += Ai*Br
/*  mfmaIndex:342  */
v_mfma_f32_16x16x4_f32 a[16+0:19+0], v[vgprValuB_X2_I0+4+2+0+1], v141, a[16:19]
 // Cr += -Ai*Bi
/*  mfmaIndex:343  */
v_mfma_f32_16x16x4_f32 a[128+0:131+0], v[vgprValuB_X2_I0+4+2+0+1], v[vgprValuA_X2_I0+0+2+0], a[128:131]
 // Ci += Ar*Bi
/*  mfmaIndex:344  */
v_mfma_f32_16x16x4_f32 a[32+0:35+0], v[vgprValuB_X2_I0+8+2+0], v[vgprValuA_X2_I0+0+2+0], a[32:35]
 // Cr += Ar*Br
/*  mfmaIndex:345  */
v_mfma_f32_16x16x4_f32 a[144+0:147+0], v[vgprValuB_X2_I0+8+2+0], v[vgprValuA_X2_I0+0+2+0+1], a[144:147]
 // Ci += Ai*Br
/*  mfmaIndex:346  */
v_mfma_f32_16x16x4_f32 a[32+0:35+0], v[vgprValuB_X2_I0+8+2+0+1], v141, a[32:35]
 // Cr += -Ai*Bi
/*  mfmaIndex:347  */
	;; [unrolled: 12-line block ×4, first 2 shown]
v_mfma_f32_16x16x4_f32 a[176+0:179+0], v[vgprValuB_X2_I0+16+2+0+1], v[vgprValuA_X2_I0+0+2+0], a[176:179]
 // Ci += Ar*Bi
/*  mfmaIndex:356  */
/* sched write - iter 3 writesPerItem=1 */
s_waitcnt vmcnt(0)                                 // lgkmcnt=-1 vmcnt=0wait for global read before writing to local
_ds_store_b64 v[vgprLocalWriteAddrB], v[vgprG2LB+4:vgprG2LB+4+1] offset:5120 // lwoB_0_0_2_0 = (0*LSCB)*(MT1J+PAD) + (2*LSPB) = 5120
v_mfma_f32_16x16x4_f32 a[80+0:83+0], v[vgprValuB_X2_I0+20+2+0], v[vgprValuA_X2_I0+0+2+0], a[80:83]
 // Cr += Ar*Br
/*  mfmaIndex:357  */
_buffer_load_b64 v[vgprG2LB+4:vgprG2LB+4+1], v[vgprGlobalReadOffsetB+0], s[sgprSrdB:sgprSrdB+3], s[sgprScalarGlobalReadOffsetB+1], offen offset:0 // G -> Reg 0_0_2_0
v_mfma_f32_16x16x4_f32 a[192+0:195+0], v[vgprValuB_X2_I0+20+2+0], v[vgprValuA_X2_I0+0+2+0+1], a[192:195]
 // Ci += Ai*Br
/*  mfmaIndex:358  */
v_mfma_f32_16x16x4_f32 a[80+0:83+0], v[vgprValuB_X2_I0+20+2+0+1], v141, a[80:83]
 // Cr += -Ai*Bi
/*  mfmaIndex:359  */
v_mfma_f32_16x16x4_f32 a[192+0:195+0], v[vgprValuB_X2_I0+20+2+0+1], v[vgprValuA_X2_I0+0+2+0], a[192:195]
 // Ci += Ar*Bi
/*  mfmaIndex:360  */
v_mfma_f32_16x16x4_f32 a[96+0:99+0], v[vgprValuB_X2_I0+24+2+0], v[vgprValuA_X2_I0+0+2+0], a[96:99]
 // Cr += Ar*Br
/*  mfmaIndex:361  */
v_mfma_f32_16x16x4_f32 a[208+0:211+0], v[vgprValuB_X2_I0+24+2+0], v[vgprValuA_X2_I0+0+2+0+1], a[208:211]
 // Ci += Ai*Br
/*  mfmaIndex:362  */
v_mfma_f32_16x16x4_f32 a[96+0:99+0], v[vgprValuB_X2_I0+24+2+0+1], v141, a[96:99]
 // Cr += -Ai*Bi
/*  mfmaIndex:363  */
v_mfma_f32_16x16x4_f32 a[208+0:211+0], v[vgprValuB_X2_I0+24+2+0+1], v[vgprValuA_X2_I0+0+2+0], a[208:211]
 // Ci += Ar*Bi
/*  mfmaIndex:364  */
v_add_f32 v141, -v[vgprValuA_X2_I0+4+2+0+1], 0     // Ai=-Ai
v_mfma_f32_16x16x4_f32 a[4+0:7+0], v[vgprValuB_X2_I0+0+2+0], v[vgprValuA_X2_I0+4+2+0], a[4:7]
 // Cr += Ar*Br
/*  mfmaIndex:365  */
v_mfma_f32_16x16x4_f32 a[116+0:119+0], v[vgprValuB_X2_I0+0+2+0], v[vgprValuA_X2_I0+4+2+0+1], a[116:119]
 // Ci += Ai*Br
/*  mfmaIndex:366  */
v_mfma_f32_16x16x4_f32 a[4+0:7+0], v[vgprValuB_X2_I0+0+2+0+1], v141, a[4:7]
 // Cr += -Ai*Bi
/*  mfmaIndex:367  */
v_mfma_f32_16x16x4_f32 a[116+0:119+0], v[vgprValuB_X2_I0+0+2+0+1], v[vgprValuA_X2_I0+4+2+0], a[116:119]
 // Ci += Ar*Bi
/*  mfmaIndex:368  */
v_mfma_f32_16x16x4_f32 a[20+0:23+0], v[vgprValuB_X2_I0+4+2+0], v[vgprValuA_X2_I0+4+2+0], a[20:23]
 // Cr += Ar*Br
/*  mfmaIndex:369  */
v_mfma_f32_16x16x4_f32 a[132+0:135+0], v[vgprValuB_X2_I0+4+2+0], v[vgprValuA_X2_I0+4+2+0+1], a[132:135]
 // Ci += Ai*Br
/*  mfmaIndex:370  */
v_mfma_f32_16x16x4_f32 a[20+0:23+0], v[vgprValuB_X2_I0+4+2+0+1], v141, a[20:23]
 // Cr += -Ai*Bi
/*  mfmaIndex:371  */
v_mfma_f32_16x16x4_f32 a[132+0:135+0], v[vgprValuB_X2_I0+4+2+0+1], v[vgprValuA_X2_I0+4+2+0], a[132:135]
 // Ci += Ar*Bi
/*  mfmaIndex:372  */
v_mfma_f32_16x16x4_f32 a[36+0:39+0], v[vgprValuB_X2_I0+8+2+0], v[vgprValuA_X2_I0+4+2+0], a[36:39]
 // Cr += Ar*Br
/*  mfmaIndex:373  */
v_mfma_f32_16x16x4_f32 a[148+0:151+0], v[vgprValuB_X2_I0+8+2+0], v[vgprValuA_X2_I0+4+2+0+1], a[148:151]
 // Ci += Ai*Br
/*  mfmaIndex:374  */
/* sched write - iter 3 writesPerItem=1 */
s_waitcnt vmcnt(0)                                 // lgkmcnt=-1 vmcnt=0wait for global read before writing to local
_ds_store_b64 v[vgprLocalWriteAddrB], v[vgprG2LB+6:vgprG2LB+6+1] offset:7680 // lwoB_0_0_3_0 = (0*LSCB)*(MT1J+PAD) + (3*LSPB) = 7680
v_mfma_f32_16x16x4_f32 a[36+0:39+0], v[vgprValuB_X2_I0+8+2+0+1], v141, a[36:39]
 // Cr += -Ai*Bi
/*  mfmaIndex:375  */
_buffer_load_b64 v[vgprG2LB+6:vgprG2LB+6+1], v[vgprGlobalReadOffsetB+0], s[sgprSrdB:sgprSrdB+3], s[sgprScalarGlobalReadOffsetB+2], offen offset:0 // G -> Reg 0_0_3_0
v_mfma_f32_16x16x4_f32 a[148+0:151+0], v[vgprValuB_X2_I0+8+2+0+1], v[vgprValuA_X2_I0+4+2+0], a[148:151]
 // Ci += Ar*Bi
/*  mfmaIndex:376  */
v_mfma_f32_16x16x4_f32 a[52+0:55+0], v[vgprValuB_X2_I0+12+2+0], v[vgprValuA_X2_I0+4+2+0], a[52:55]
 // Cr += Ar*Br
/*  mfmaIndex:377  */
v_mfma_f32_16x16x4_f32 a[164+0:167+0], v[vgprValuB_X2_I0+12+2+0], v[vgprValuA_X2_I0+4+2+0+1], a[164:167]
 // Ci += Ai*Br
/*  mfmaIndex:378  */
v_mfma_f32_16x16x4_f32 a[52+0:55+0], v[vgprValuB_X2_I0+12+2+0+1], v141, a[52:55]
 // Cr += -Ai*Bi
/*  mfmaIndex:379  */
v_mfma_f32_16x16x4_f32 a[164+0:167+0], v[vgprValuB_X2_I0+12+2+0+1], v[vgprValuA_X2_I0+4+2+0], a[164:167]
 // Ci += Ar*Bi
/*  mfmaIndex:380  */
v_mfma_f32_16x16x4_f32 a[68+0:71+0], v[vgprValuB_X2_I0+16+2+0], v[vgprValuA_X2_I0+4+2+0], a[68:71]
 // Cr += Ar*Br
/*  mfmaIndex:381  */
v_mfma_f32_16x16x4_f32 a[180+0:183+0], v[vgprValuB_X2_I0+16+2+0], v[vgprValuA_X2_I0+4+2+0+1], a[180:183]
 // Ci += Ai*Br
/*  mfmaIndex:382  */
v_mfma_f32_16x16x4_f32 a[68+0:71+0], v[vgprValuB_X2_I0+16+2+0+1], v141, a[68:71]
 // Cr += -Ai*Bi
/*  mfmaIndex:383  */
	;; [unrolled: 12-line block ×4, first 2 shown]
v_mfma_f32_16x16x4_f32 a[212+0:215+0], v[vgprValuB_X2_I0+24+2+0+1], v[vgprValuA_X2_I0+4+2+0], a[212:215]
 // Ci += Ar*Bi
/*  mfmaIndex:392  */
/* sched write - iter 3 writesPerItem=1 */
s_waitcnt vmcnt(0)                                 // lgkmcnt=-1 vmcnt=0wait for global read before writing to local
_ds_store_b64 v[vgprLocalWriteAddrB], v[vgprG2LB+8:vgprG2LB+8+1] offset:10240 // lwoB_0_0_4_0 = (0*LSCB)*(MT1J+PAD) + (4*LSPB) = 10240
v_add_f32 v141, -v[vgprValuA_X2_I0+8+2+0+1], 0     // Ai=-Ai
v_mfma_f32_16x16x4_f32 a[8+0:11+0], v[vgprValuB_X2_I0+0+2+0], v[vgprValuA_X2_I0+8+2+0], a[8:11]
 // Cr += Ar*Br
/*  mfmaIndex:393  */
_buffer_load_b64 v[vgprG2LB+8:vgprG2LB+8+1], v[vgprGlobalReadOffsetB+0], s[sgprSrdB:sgprSrdB+3], s[sgprScalarGlobalReadOffsetB+3], offen offset:0 // G -> Reg 0_0_4_0
v_mfma_f32_16x16x4_f32 a[120+0:123+0], v[vgprValuB_X2_I0+0+2+0], v[vgprValuA_X2_I0+8+2+0+1], a[120:123]
 // Ci += Ai*Br
/*  mfmaIndex:394  */
v_mfma_f32_16x16x4_f32 a[8+0:11+0], v[vgprValuB_X2_I0+0+2+0+1], v141, a[8:11]
 // Cr += -Ai*Bi
/*  mfmaIndex:395  */
v_mfma_f32_16x16x4_f32 a[120+0:123+0], v[vgprValuB_X2_I0+0+2+0+1], v[vgprValuA_X2_I0+8+2+0], a[120:123]
 // Ci += Ar*Bi
/*  mfmaIndex:396  */
v_mfma_f32_16x16x4_f32 a[24+0:27+0], v[vgprValuB_X2_I0+4+2+0], v[vgprValuA_X2_I0+8+2+0], a[24:27]
 // Cr += Ar*Br
/*  mfmaIndex:397  */
v_mfma_f32_16x16x4_f32 a[136+0:139+0], v[vgprValuB_X2_I0+4+2+0], v[vgprValuA_X2_I0+8+2+0+1], a[136:139]
 // Ci += Ai*Br
/*  mfmaIndex:398  */
v_mfma_f32_16x16x4_f32 a[24+0:27+0], v[vgprValuB_X2_I0+4+2+0+1], v141, a[24:27]
 // Cr += -Ai*Bi
/*  mfmaIndex:399  */
v_mfma_f32_16x16x4_f32 a[136+0:139+0], v[vgprValuB_X2_I0+4+2+0+1], v[vgprValuA_X2_I0+8+2+0], a[136:139]
 // Ci += Ar*Bi
/*  mfmaIndex:400  */
v_mfma_f32_16x16x4_f32 a[40+0:43+0], v[vgprValuB_X2_I0+8+2+0], v[vgprValuA_X2_I0+8+2+0], a[40:43]
 // Cr += Ar*Br
/*  mfmaIndex:401  */
	;; [unrolled: 12-line block ×4, first 2 shown]
v_mfma_f32_16x16x4_f32 a[184+0:187+0], v[vgprValuB_X2_I0+16+2+0], v[vgprValuA_X2_I0+8+2+0+1], a[184:187]
 // Ci += Ai*Br
/*  mfmaIndex:410  */
/* sched write - iter 3 writesPerItem=1 */
s_waitcnt vmcnt(0)                                 // lgkmcnt=-1 vmcnt=0wait for global read before writing to local
_ds_store_b64 v[vgprLocalWriteAddrB], v[vgprG2LB+10:vgprG2LB+10+1] offset:12800 // lwoB_0_0_5_0 = (0*LSCB)*(MT1J+PAD) + (5*LSPB) = 12800
v_mfma_f32_16x16x4_f32 a[72+0:75+0], v[vgprValuB_X2_I0+16+2+0+1], v141, a[72:75]
 // Cr += -Ai*Bi
/*  mfmaIndex:411  */
_buffer_load_b64 v[vgprG2LB+10:vgprG2LB+10+1], v[vgprGlobalReadOffsetB+0], s[sgprSrdB:sgprSrdB+3], s[sgprScalarGlobalReadOffsetB+4], offen offset:0 // G -> Reg 0_0_5_0
v_mfma_f32_16x16x4_f32 a[184+0:187+0], v[vgprValuB_X2_I0+16+2+0+1], v[vgprValuA_X2_I0+8+2+0], a[184:187]
 // Ci += Ar*Bi
/*  mfmaIndex:412  */
v_mfma_f32_16x16x4_f32 a[88+0:91+0], v[vgprValuB_X2_I0+20+2+0], v[vgprValuA_X2_I0+8+2+0], a[88:91]
 // Cr += Ar*Br
/*  mfmaIndex:413  */
v_mfma_f32_16x16x4_f32 a[200+0:203+0], v[vgprValuB_X2_I0+20+2+0], v[vgprValuA_X2_I0+8+2+0+1], a[200:203]
 // Ci += Ai*Br
/*  mfmaIndex:414  */
v_mfma_f32_16x16x4_f32 a[88+0:91+0], v[vgprValuB_X2_I0+20+2+0+1], v141, a[88:91]
 // Cr += -Ai*Bi
/*  mfmaIndex:415  */
v_mfma_f32_16x16x4_f32 a[200+0:203+0], v[vgprValuB_X2_I0+20+2+0+1], v[vgprValuA_X2_I0+8+2+0], a[200:203]
 // Ci += Ar*Bi
/*  mfmaIndex:416  */
v_mfma_f32_16x16x4_f32 a[104+0:107+0], v[vgprValuB_X2_I0+24+2+0], v[vgprValuA_X2_I0+8+2+0], a[104:107]
 // Cr += Ar*Br
/*  mfmaIndex:417  */
v_mfma_f32_16x16x4_f32 a[216+0:219+0], v[vgprValuB_X2_I0+24+2+0], v[vgprValuA_X2_I0+8+2+0+1], a[216:219]
 // Ci += Ai*Br
/*  mfmaIndex:418  */
v_mfma_f32_16x16x4_f32 a[104+0:107+0], v[vgprValuB_X2_I0+24+2+0+1], v141, a[104:107]
 // Cr += -Ai*Bi
/*  mfmaIndex:419  */
v_mfma_f32_16x16x4_f32 a[216+0:219+0], v[vgprValuB_X2_I0+24+2+0+1], v[vgprValuA_X2_I0+8+2+0], a[216:219]
 // Ci += Ar*Bi
/*  mfmaIndex:420  */
v_add_f32 v141, -v[vgprValuA_X2_I0+12+2+0+1], 0    // Ai=-Ai
v_mfma_f32_16x16x4_f32 a[12+0:15+0], v[vgprValuB_X2_I0+0+2+0], v[vgprValuA_X2_I0+12+2+0], a[12:15]
 // Cr += Ar*Br
/*  mfmaIndex:421  */
v_mfma_f32_16x16x4_f32 a[124+0:127+0], v[vgprValuB_X2_I0+0+2+0], v[vgprValuA_X2_I0+12+2+0+1], a[124:127]
 // Ci += Ai*Br
/*  mfmaIndex:422  */
v_mfma_f32_16x16x4_f32 a[12+0:15+0], v[vgprValuB_X2_I0+0+2+0+1], v141, a[12:15]
 // Cr += -Ai*Bi
/*  mfmaIndex:423  */
v_mfma_f32_16x16x4_f32 a[124+0:127+0], v[vgprValuB_X2_I0+0+2+0+1], v[vgprValuA_X2_I0+12+2+0], a[124:127]
 // Ci += Ar*Bi
/*  mfmaIndex:424  */
v_mfma_f32_16x16x4_f32 a[28+0:31+0], v[vgprValuB_X2_I0+4+2+0], v[vgprValuA_X2_I0+12+2+0], a[28:31]
 // Cr += Ar*Br
/*  mfmaIndex:425  */
v_mfma_f32_16x16x4_f32 a[140+0:143+0], v[vgprValuB_X2_I0+4+2+0], v[vgprValuA_X2_I0+12+2+0+1], a[140:143]
 // Ci += Ai*Br
/*  mfmaIndex:426  */
v_mfma_f32_16x16x4_f32 a[28+0:31+0], v[vgprValuB_X2_I0+4+2+0+1], v141, a[28:31]
 // Cr += -Ai*Bi
/*  mfmaIndex:427  */
v_mfma_f32_16x16x4_f32 a[140+0:143+0], v[vgprValuB_X2_I0+4+2+0+1], v[vgprValuA_X2_I0+12+2+0], a[140:143]
 // Ci += Ar*Bi
/*  mfmaIndex:428  */
v_mfma_f32_16x16x4_f32 a[44+0:47+0], v[vgprValuB_X2_I0+8+2+0], v[vgprValuA_X2_I0+12+2+0], a[44:47]
 // Cr += Ar*Br
/*  mfmaIndex:429  */
/* sched write - iter 3 writesPerItem=1 */
s_waitcnt vmcnt(0)                                 // lgkmcnt=-1 vmcnt=0wait for global read before writing to local
_ds_store_b64 v[vgprLocalWriteAddrB], v[vgprG2LB+12:vgprG2LB+12+1] offset:15360 // lwoB_0_0_6_0 = (0*LSCB)*(MT1J+PAD) + (6*LSPB) = 15360
v_mfma_f32_16x16x4_f32 a[156+0:159+0], v[vgprValuB_X2_I0+8+2+0], v[vgprValuA_X2_I0+12+2+0+1], a[156:159]
 // Ci += Ai*Br
/*  mfmaIndex:430  */
_buffer_load_b64 v[vgprG2LB+12:vgprG2LB+12+1], v[vgprGlobalReadOffsetB+0], s[sgprSrdB:sgprSrdB+3], s[sgprScalarGlobalReadOffsetB+5], offen offset:0 // G -> Reg 0_0_6_0

/* local write swap offsets a */

/* local write swap offsets b */
v_mfma_f32_16x16x4_f32 a[44+0:47+0], v[vgprValuB_X2_I0+8+2+0+1], v141, a[44:47]
 // Cr += -Ai*Bi
/*  mfmaIndex:431  */
v_mfma_f32_16x16x4_f32 a[156+0:159+0], v[vgprValuB_X2_I0+8+2+0+1], v[vgprValuA_X2_I0+12+2+0], a[156:159]
 // Ci += Ar*Bi
s_setprio 0                                        // store optimization
/*  mfmaIndex:432  */
s_waitcnt lgkmcnt(0)                               // lgkmcnt=0 vmcnt=-13wait for local write
// Skip force waitcnt0
s_barrier //
v_mfma_f32_16x16x4_f32 a[60+0:63+0], v[vgprValuB_X2_I0+12+2+0], v[vgprValuA_X2_I0+12+2+0], a[60:63]
 // Cr += Ar*Br
/*  mfmaIndex:433  */
s_setprio 3                                        // store optimization
_ds_load_b128 v[vgprValuA_X0_I0+0:vgprValuA_X0_I0+0+3], v[vgprLocalReadAddrA] offset:0 // L -> Reg lro=0 swapByteOffset=0 ti=128 vIdx=0 rIdx=0 oIdx=0 buffer=0 iui=0
v_mfma_f32_16x16x4_f32 a[172+0:175+0], v[vgprValuB_X2_I0+12+2+0], v[vgprValuA_X2_I0+12+2+0+1], a[172:175]
 // Ci += Ai*Br
/*  mfmaIndex:434  */
_ds_load_b128 v[vgprValuB_X0_I0+0:vgprValuB_X0_I0+0+3], v[vgprLocalReadAddrB] offset:0 // L -> Reg lro=0 swapByteOffset=0 ti=16 vIdx=0 rIdx=0 oIdx=0 buffer=0 iui=0
v_mfma_f32_16x16x4_f32 a[60+0:63+0], v[vgprValuB_X2_I0+12+2+0+1], v141, a[60:63]
 // Cr += -Ai*Bi
/*  mfmaIndex:435  */
_ds_load_b128 v[vgprValuA_X0_I0+4:vgprValuA_X0_I0+4+3], v[vgprLocalReadAddrA] offset:128 // L -> Reg lro=0 swapByteOffset=0 ti=128 vIdx=0 rIdx=0 oIdx=0 buffer=0 iui=0
v_mfma_f32_16x16x4_f32 a[172+0:175+0], v[vgprValuB_X2_I0+12+2+0+1], v[vgprValuA_X2_I0+12+2+0], a[172:175]
 // Ci += Ar*Bi
/*  mfmaIndex:436  */
_ds_load_b128 v[vgprValuA_X0_I0+8:vgprValuA_X0_I0+8+3], v[vgprLocalReadAddrA] offset:18432 // L -> Reg lro=0 swapByteOffset=0 ti=128 vIdx=1 rIdx=0 oIdx=0 buffer=0 iui=0
v_mfma_f32_16x16x4_f32 a[76+0:79+0], v[vgprValuB_X2_I0+16+2+0], v[vgprValuA_X2_I0+12+2+0], a[76:79]
 // Cr += Ar*Br
/*  mfmaIndex:437  */
_ds_load_b128 v[vgprValuA_X0_I0+12:vgprValuA_X0_I0+12+3], v[vgprLocalReadAddrA] offset:18560 // L -> Reg lro=0 swapByteOffset=0 ti=128 vIdx=1 rIdx=0 oIdx=0 buffer=0 iui=0
v_mfma_f32_16x16x4_f32 a[188+0:191+0], v[vgprValuB_X2_I0+16+2+0], v[vgprValuA_X2_I0+12+2+0+1], a[188:191]
 // Ci += Ai*Br
/*  mfmaIndex:438  */
_ds_load_b128 v[vgprValuB_X0_I0+4:vgprValuB_X0_I0+4+3], v[vgprLocalReadAddrB] offset:2560 // L -> Reg lro=0 swapByteOffset=0 ti=16 vIdx=1 rIdx=0 oIdx=0 buffer=0 iui=0
v_mfma_f32_16x16x4_f32 a[76+0:79+0], v[vgprValuB_X2_I0+16+2+0+1], v141, a[76:79]
 // Cr += -Ai*Bi
/*  mfmaIndex:439  */
_ds_load_b128 v[vgprValuB_X0_I0+8:vgprValuB_X0_I0+8+3], v[vgprLocalReadAddrB] offset:5120 // L -> Reg lro=0 swapByteOffset=0 ti=16 vIdx=2 rIdx=0 oIdx=0 buffer=0 iui=0
v_mfma_f32_16x16x4_f32 a[188+0:191+0], v[vgprValuB_X2_I0+16+2+0+1], v[vgprValuA_X2_I0+12+2+0], a[188:191]
 // Ci += Ar*Bi
/*  mfmaIndex:440  */
_ds_load_b128 v[vgprValuB_X0_I0+12:vgprValuB_X0_I0+12+3], v[vgprLocalReadAddrB] offset:7680 // L -> Reg lro=0 swapByteOffset=0 ti=16 vIdx=3 rIdx=0 oIdx=0 buffer=0 iui=0
v_mfma_f32_16x16x4_f32 a[92+0:95+0], v[vgprValuB_X2_I0+20+2+0], v[vgprValuA_X2_I0+12+2+0], a[92:95]
 // Cr += Ar*Br
/*  mfmaIndex:441  */
_ds_load_b128 v[vgprValuB_X0_I0+16:vgprValuB_X0_I0+16+3], v[vgprLocalReadAddrB] offset:10240 // L -> Reg lro=0 swapByteOffset=0 ti=16 vIdx=4 rIdx=0 oIdx=0 buffer=0 iui=0
v_mfma_f32_16x16x4_f32 a[204+0:207+0], v[vgprValuB_X2_I0+20+2+0], v[vgprValuA_X2_I0+12+2+0+1], a[204:207]
 // Ci += Ai*Br
/*  mfmaIndex:442  */
_ds_load_b128 v[vgprValuB_X0_I0+20:vgprValuB_X0_I0+20+3], v[vgprLocalReadAddrB] offset:12800 // L -> Reg lro=0 swapByteOffset=0 ti=16 vIdx=5 rIdx=0 oIdx=0 buffer=0 iui=0
v_mfma_f32_16x16x4_f32 a[92+0:95+0], v[vgprValuB_X2_I0+20+2+0+1], v141, a[92:95]
 // Cr += -Ai*Bi
/*  mfmaIndex:443  */
_ds_load_b128 v[vgprValuB_X0_I0+24:vgprValuB_X0_I0+24+3], v[vgprLocalReadAddrB] offset:15360 // L -> Reg lro=0 swapByteOffset=0 ti=16 vIdx=6 rIdx=0 oIdx=0 buffer=0 iui=0
v_mfma_f32_16x16x4_f32 a[204+0:207+0], v[vgprValuB_X2_I0+20+2+0+1], v[vgprValuA_X2_I0+12+2+0], a[204:207]
 // Ci += Ar*Bi
/*  mfmaIndex:444  */
v_mfma_f32_16x16x4_f32 a[108+0:111+0], v[vgprValuB_X2_I0+24+2+0], v[vgprValuA_X2_I0+12+2+0], a[108:111]
 // Cr += Ar*Br
/*  mfmaIndex:445  */
v_mfma_f32_16x16x4_f32 a[220+0:223+0], v[vgprValuB_X2_I0+24+2+0], v[vgprValuA_X2_I0+12+2+0+1], a[220:223]
 // Ci += Ai*Br
/*  mfmaIndex:446  */
v_mfma_f32_16x16x4_f32 a[108+0:111+0], v[vgprValuB_X2_I0+24+2+0+1], v141, a[108:111]
 // Cr += -Ai*Bi
/*  mfmaIndex:447  */
v_mfma_f32_16x16x4_f32 a[220+0:223+0], v[vgprValuB_X2_I0+24+2+0+1], v[vgprValuA_X2_I0+12+2+0], a[220:223]
 // Ci += Ar*Bi
s_setprio 0                                        // store optimization


/******************************************/
/* Unrolled Loop - End 2/2 (final)        */
/******************************************/


/* closeLoop loopL finalLoop=1 tailLoop=0 */
s_sub_u32 s[sgprLoopCounterL], s[sgprLoopCounterL], 1 // dec counterL
s_cmp_eq_i32 s[sgprLoopCounterL], 0x2              // counterL==2
s_cbranch_scc0 LoopBeginL_1                        // restart LoopL
LoopEndL_evenexit_4: // unroll loop eveniter exit
s_branch LoopEndL_2                                // exit unroll loopL (and skip second exit code)
LoopEndL_oddexit_3: // unroll loop odditer exit

/* Select high bank of LDS */
LoopEndL_2:


/* Before NLL: Check VGPR.checkin for INT8 LW */


/******************************************/
/* Ord. NoGlobalLoadLoop - Begin                                      */
/******************************************/


	;; [unrolled: 1-line block ×3, first 2 shown]
/* iter 0 */

/*  grEndMfmaIndex:6, lwStartMfmaIndex:29, lwEndMfmaIndex:430  */
/*  numMfmaForLR:15, barrierMfmaIndex:432, LocalWritePerMfma:0.055 */
/*  mfmaIndex:0  */
s_waitcnt lgkmcnt(0)                               // lgkmcnt=0 vmcnt=-1wait for prior local read local write old=0, new=0 newLW=0 newLR=0
v_add_f32 v141, -v[vgprValuA_X0_I0+0+0+0+1], 0     // Ai=-Ai
v_mfma_f32_16x16x4_f32 a[0+0:3+0], v[vgprValuB_X0_I0+0+0+0], v[vgprValuA_X0_I0+0+0+0], a[0:3]
 // Cr += Ar*Br
/*  mfmaIndex:1  */
_ds_load_b128 v[vgprValuA_X2_I0+0:vgprValuA_X2_I0+0+3], v[vgprLocalReadAddrA] offset:64 // L -> Reg lro=8 swapByteOffset=0 ti=128 vIdx=0 rIdx=0 oIdx=0 buffer=2 iui=0

/* global read inc A loopL */
s_cmp_eq_u32 s[sgprLoopCounterL], s[sgprStaggerUIter] // Is this the wrapIter?
s_cselect_b32 s82, s[sgprWrapUA+0], s[sgprGlobalReadIncsA+0] // incLower <- ?
s_cselect_b32 s83, s[sgprWrapUA+1], 0              // incUpper <- ?
v_mfma_f32_16x16x4_f32 a[112+0:115+0], v[vgprValuB_X0_I0+0+0+0], v[vgprValuA_X0_I0+0+0+0+1], a[112:115]
 // Ci += Ai*Br
/*  mfmaIndex:2  */
_ds_load_b128 v[vgprValuB_X2_I0+0:vgprValuB_X2_I0+0+3], v[vgprLocalReadAddrB] offset:64 // L -> Reg lro=8 swapByteOffset=0 ti=16 vIdx=0 rIdx=0 oIdx=0 buffer=2 iui=0
s_add_u32 s[sgprSrdA+0], s[sgprSrdA+0], s82        // gra SRD += inc(lower)
s_addc_u32  s[sgprSrdA+1], s[sgprSrdA+1], s83      // gra SRD += inc(upper)
s_sub_u32 s[sgprShadowLimitA+0], s[sgprShadowLimitA+0], s82 // limit -= inc)
v_mfma_f32_16x16x4_f32 a[0+0:3+0], v[vgprValuB_X0_I0+0+0+0+1], v141, a[0:3]
 // Cr += -Ai*Bi
/*  mfmaIndex:3  */
_ds_load_b128 v[vgprValuA_X2_I0+4:vgprValuA_X2_I0+4+3], v[vgprLocalReadAddrA] offset:192 // L -> Reg lro=8 swapByteOffset=0 ti=128 vIdx=0 rIdx=0 oIdx=0 buffer=2 iui=0
s_subb_u32 s[sgprShadowLimitA+1], s[sgprShadowLimitA+1], s83 // limit -= inc)
s_cmp_eq_u32 s[sgprShadowLimitA+1], 0              // are we within 2^32?
s_cselect_b32 s[sgprSrdA+2], s[sgprShadowLimitA+0], BufferLimitA // Move shadow to real if we are within 2^32
v_mfma_f32_16x16x4_f32 a[112+0:115+0], v[vgprValuB_X0_I0+0+0+0+1], v[vgprValuA_X0_I0+0+0+0], a[112:115]
 // Ci += Ar*Bi
/*  mfmaIndex:4  */
_ds_load_b128 v[vgprValuA_X2_I0+8:vgprValuA_X2_I0+8+3], v[vgprLocalReadAddrA] offset:18496 // L -> Reg lro=8 swapByteOffset=0 ti=128 vIdx=1 rIdx=0 oIdx=0 buffer=2 iui=0

/* global read inc B loopL */
s_cmp_eq_u32 s[sgprLoopCounterL], s[sgprStaggerUIter] // Is this the wrapIter?
s_cselect_b32 s82, s[sgprWrapUB+0], s[sgprGlobalReadIncsB+0] // incLower <- ?
s_cselect_b32 s83, s[sgprWrapUB+1], 0              // incUpper <- ?
v_mfma_f32_16x16x4_f32 a[16+0:19+0], v[vgprValuB_X0_I0+4+0+0], v[vgprValuA_X0_I0+0+0+0], a[16:19]
 // Cr += Ar*Br
/*  mfmaIndex:5  */
_ds_load_b128 v[vgprValuA_X2_I0+12:vgprValuA_X2_I0+12+3], v[vgprLocalReadAddrA] offset:18624 // L -> Reg lro=8 swapByteOffset=0 ti=128 vIdx=1 rIdx=0 oIdx=0 buffer=2 iui=0
s_add_u32 s[sgprSrdB+0], s[sgprSrdB+0], s82        // gra SRD += inc(lower)
s_addc_u32  s[sgprSrdB+1], s[sgprSrdB+1], s83      // gra SRD += inc(upper)
s_sub_u32 s[sgprShadowLimitB+0], s[sgprShadowLimitB+0], s82 // limit -= inc)
v_mfma_f32_16x16x4_f32 a[128+0:131+0], v[vgprValuB_X0_I0+4+0+0], v[vgprValuA_X0_I0+0+0+0+1], a[128:131]
 // Ci += Ai*Br
/*  mfmaIndex:6  */
_ds_load_b128 v[vgprValuB_X2_I0+4:vgprValuB_X2_I0+4+3], v[vgprLocalReadAddrB] offset:2624 // L -> Reg lro=8 swapByteOffset=0 ti=16 vIdx=1 rIdx=0 oIdx=0 buffer=2 iui=0
s_subb_u32 s[sgprShadowLimitB+1], s[sgprShadowLimitB+1], s83 // limit -= inc)
s_cmp_eq_u32 s[sgprShadowLimitB+1], 0              // are we within 2^32?
s_cselect_b32 s[sgprSrdB+2], s[sgprShadowLimitB+0], BufferLimitB // Move shadow to real if we are within 2^32
v_mfma_f32_16x16x4_f32 a[16+0:19+0], v[vgprValuB_X0_I0+4+0+0+1], v141, a[16:19]
 // Cr += -Ai*Bi
/*  mfmaIndex:7  */
_ds_load_b128 v[vgprValuB_X2_I0+8:vgprValuB_X2_I0+8+3], v[vgprLocalReadAddrB] offset:5184 // L -> Reg lro=8 swapByteOffset=0 ti=16 vIdx=2 rIdx=0 oIdx=0 buffer=2 iui=0
v_mfma_f32_16x16x4_f32 a[128+0:131+0], v[vgprValuB_X0_I0+4+0+0+1], v[vgprValuA_X0_I0+0+0+0], a[128:131]
 // Ci += Ar*Bi
/*  mfmaIndex:8  */
_ds_load_b128 v[vgprValuB_X2_I0+12:vgprValuB_X2_I0+12+3], v[vgprLocalReadAddrB] offset:7744 // L -> Reg lro=8 swapByteOffset=0 ti=16 vIdx=3 rIdx=0 oIdx=0 buffer=2 iui=0
v_mfma_f32_16x16x4_f32 a[32+0:35+0], v[vgprValuB_X0_I0+8+0+0], v[vgprValuA_X0_I0+0+0+0], a[32:35]
 // Cr += Ar*Br
/*  mfmaIndex:9  */
_ds_load_b128 v[vgprValuB_X2_I0+16:vgprValuB_X2_I0+16+3], v[vgprLocalReadAddrB] offset:10304 // L -> Reg lro=8 swapByteOffset=0 ti=16 vIdx=4 rIdx=0 oIdx=0 buffer=2 iui=0
v_mfma_f32_16x16x4_f32 a[144+0:147+0], v[vgprValuB_X0_I0+8+0+0], v[vgprValuA_X0_I0+0+0+0+1], a[144:147]
 // Ci += Ai*Br
/*  mfmaIndex:10  */
_ds_load_b128 v[vgprValuB_X2_I0+20:vgprValuB_X2_I0+20+3], v[vgprLocalReadAddrB] offset:12864 // L -> Reg lro=8 swapByteOffset=0 ti=16 vIdx=5 rIdx=0 oIdx=0 buffer=2 iui=0
v_mfma_f32_16x16x4_f32 a[32+0:35+0], v[vgprValuB_X0_I0+8+0+0+1], v141, a[32:35]
 // Cr += -Ai*Bi
/*  mfmaIndex:11  */
_ds_load_b128 v[vgprValuB_X2_I0+24:vgprValuB_X2_I0+24+3], v[vgprLocalReadAddrB] offset:15424 // L -> Reg lro=8 swapByteOffset=0 ti=16 vIdx=6 rIdx=0 oIdx=0 buffer=2 iui=0
/* localReadsVacancy: latencyLeft 1 */
v_mfma_f32_16x16x4_f32 a[144+0:147+0], v[vgprValuB_X0_I0+8+0+0+1], v[vgprValuA_X0_I0+0+0+0], a[144:147]
 // Ci += Ar*Bi
/*  mfmaIndex:12  */
/* localReadsVacancy: latencyLeft 5 */
v_mfma_f32_16x16x4_f32 a[48+0:51+0], v[vgprValuB_X0_I0+12+0+0], v[vgprValuA_X0_I0+0+0+0], a[48:51]
 // Cr += Ar*Br
/*  mfmaIndex:13  */
/* localReadsVacancy: latencyLeft 5 */
v_mfma_f32_16x16x4_f32 a[160+0:163+0], v[vgprValuB_X0_I0+12+0+0], v[vgprValuA_X0_I0+0+0+0+1], a[160:163]
 // Ci += Ai*Br
/*  mfmaIndex:14  */
/* localReadsVacancy: latencyLeft 5 */
v_mfma_f32_16x16x4_f32 a[48+0:51+0], v[vgprValuB_X0_I0+12+0+0+1], v141, a[48:51]
 // Cr += -Ai*Bi
/*  mfmaIndex:15  */
/* localReadsVacancy: latencyLeft 5 */
v_mfma_f32_16x16x4_f32 a[160+0:163+0], v[vgprValuB_X0_I0+12+0+0+1], v[vgprValuA_X0_I0+0+0+0], a[160:163]
 // Ci += Ar*Bi
/*  mfmaIndex:16  */
/* localReadsVacancy: latencyLeft 5 */
v_mfma_f32_16x16x4_f32 a[64+0:67+0], v[vgprValuB_X0_I0+16+0+0], v[vgprValuA_X0_I0+0+0+0], a[64:67]
 // Cr += Ar*Br
/*  mfmaIndex:17  */
/* localReadsVacancy: latencyLeft 5 */
v_mfma_f32_16x16x4_f32 a[176+0:179+0], v[vgprValuB_X0_I0+16+0+0], v[vgprValuA_X0_I0+0+0+0+1], a[176:179]
 // Ci += Ai*Br
/*  mfmaIndex:18  */
/* localReadsVacancy: latencyLeft 5 */
v_mfma_f32_16x16x4_f32 a[64+0:67+0], v[vgprValuB_X0_I0+16+0+0+1], v141, a[64:67]
 // Cr += -Ai*Bi
/*  mfmaIndex:19  */
	;; [unrolled: 16-line block ×4, first 2 shown]
/* localReadsVacancy: latencyLeft 5 */
v_mfma_f32_16x16x4_f32 a[208+0:211+0], v[vgprValuB_X0_I0+24+0+0+1], v[vgprValuA_X0_I0+0+0+0], a[208:211]
 // Ci += Ar*Bi
/*  mfmaIndex:28  */
/* localReadsVacancy: latencyLeft 5 */
/* 1 LDS buffer: read-sync-write */
s_waitcnt lgkmcnt(0)                               // 
s_barrier                                          // 
v_add_f32 v141, -v[vgprValuA_X0_I0+4+0+0+1], 0     // Ai=-Ai
v_mfma_f32_16x16x4_f32 a[4+0:7+0], v[vgprValuB_X0_I0+0+0+0], v[vgprValuA_X0_I0+4+0+0], a[4:7]
 // Cr += Ar*Br
/*  mfmaIndex:29  */
s_setprio 3                                        // store optimization
/* sched write - iter 0 writesPerItem=1 */
s_waitcnt vmcnt(0)                                 // lgkmcnt=-1 vmcnt=0wait for global read before writing to local
_ds_store_b64 v[vgprLocalWriteAddrA], v[vgprG2LA+0:vgprG2LA+0+1] offset:0 // lwoA_0_0_0_0 = (0*LSCA)*(MT0I+PAD) + (0*LSPA) = 0
v_mfma_f32_16x16x4_f32 a[116+0:119+0], v[vgprValuB_X0_I0+0+0+0], v[vgprValuA_X0_I0+4+0+0+1], a[116:119]
 // Ci += Ai*Br
/*  mfmaIndex:30  */
v_mfma_f32_16x16x4_f32 a[4+0:7+0], v[vgprValuB_X0_I0+0+0+0+1], v141, a[4:7]
 // Cr += -Ai*Bi
/*  mfmaIndex:31  */
v_mfma_f32_16x16x4_f32 a[116+0:119+0], v[vgprValuB_X0_I0+0+0+0+1], v[vgprValuA_X0_I0+4+0+0], a[116:119]
 // Ci += Ar*Bi
/*  mfmaIndex:32  */
v_mfma_f32_16x16x4_f32 a[20+0:23+0], v[vgprValuB_X0_I0+4+0+0], v[vgprValuA_X0_I0+4+0+0], a[20:23]
 // Cr += Ar*Br
/*  mfmaIndex:33  */
v_mfma_f32_16x16x4_f32 a[132+0:135+0], v[vgprValuB_X0_I0+4+0+0], v[vgprValuA_X0_I0+4+0+0+1], a[132:135]
 // Ci += Ai*Br
/*  mfmaIndex:34  */
v_mfma_f32_16x16x4_f32 a[20+0:23+0], v[vgprValuB_X0_I0+4+0+0+1], v141, a[20:23]
 // Cr += -Ai*Bi
/*  mfmaIndex:35  */
v_mfma_f32_16x16x4_f32 a[132+0:135+0], v[vgprValuB_X0_I0+4+0+0+1], v[vgprValuA_X0_I0+4+0+0], a[132:135]
 // Ci += Ar*Bi
/*  mfmaIndex:36  */
v_mfma_f32_16x16x4_f32 a[36+0:39+0], v[vgprValuB_X0_I0+8+0+0], v[vgprValuA_X0_I0+4+0+0], a[36:39]
 // Cr += Ar*Br
/*  mfmaIndex:37  */
	;; [unrolled: 12-line block ×4, first 2 shown]
v_mfma_f32_16x16x4_f32 a[180+0:183+0], v[vgprValuB_X0_I0+16+0+0], v[vgprValuA_X0_I0+4+0+0+1], a[180:183]
 // Ci += Ai*Br
/*  mfmaIndex:46  */
v_mfma_f32_16x16x4_f32 a[68+0:71+0], v[vgprValuB_X0_I0+16+0+0+1], v141, a[68:71]
 // Cr += -Ai*Bi
/*  mfmaIndex:47  */
/* sched write - iter 0 writesPerItem=1 */
s_waitcnt vmcnt(0)                                 // lgkmcnt=-1 vmcnt=0wait for global read before writing to local
_ds_store_b64 v[vgprLocalWriteAddrA], v[vgprG2LA+2:vgprG2LA+2+1] offset:2304 // lwoA_0_0_1_0 = (0*LSCA)*(MT0I+PAD) + (1*LSPA) = 2304
v_mfma_f32_16x16x4_f32 a[180+0:183+0], v[vgprValuB_X0_I0+16+0+0+1], v[vgprValuA_X0_I0+4+0+0], a[180:183]
 // Ci += Ar*Bi
/*  mfmaIndex:48  */
v_mfma_f32_16x16x4_f32 a[84+0:87+0], v[vgprValuB_X0_I0+20+0+0], v[vgprValuA_X0_I0+4+0+0], a[84:87]
 // Cr += Ar*Br
/*  mfmaIndex:49  */
v_mfma_f32_16x16x4_f32 a[196+0:199+0], v[vgprValuB_X0_I0+20+0+0], v[vgprValuA_X0_I0+4+0+0+1], a[196:199]
 // Ci += Ai*Br
/*  mfmaIndex:50  */
v_mfma_f32_16x16x4_f32 a[84+0:87+0], v[vgprValuB_X0_I0+20+0+0+1], v141, a[84:87]
 // Cr += -Ai*Bi
/*  mfmaIndex:51  */
v_mfma_f32_16x16x4_f32 a[196+0:199+0], v[vgprValuB_X0_I0+20+0+0+1], v[vgprValuA_X0_I0+4+0+0], a[196:199]
 // Ci += Ar*Bi
/*  mfmaIndex:52  */
v_mfma_f32_16x16x4_f32 a[100+0:103+0], v[vgprValuB_X0_I0+24+0+0], v[vgprValuA_X0_I0+4+0+0], a[100:103]
 // Cr += Ar*Br
/*  mfmaIndex:53  */
v_mfma_f32_16x16x4_f32 a[212+0:215+0], v[vgprValuB_X0_I0+24+0+0], v[vgprValuA_X0_I0+4+0+0+1], a[212:215]
 // Ci += Ai*Br
/*  mfmaIndex:54  */
v_mfma_f32_16x16x4_f32 a[100+0:103+0], v[vgprValuB_X0_I0+24+0+0+1], v141, a[100:103]
 // Cr += -Ai*Bi
/*  mfmaIndex:55  */
v_mfma_f32_16x16x4_f32 a[212+0:215+0], v[vgprValuB_X0_I0+24+0+0+1], v[vgprValuA_X0_I0+4+0+0], a[212:215]
 // Ci += Ar*Bi
/*  mfmaIndex:56  */
v_add_f32 v141, -v[vgprValuA_X0_I0+8+0+0+1], 0     // Ai=-Ai
v_mfma_f32_16x16x4_f32 a[8+0:11+0], v[vgprValuB_X0_I0+0+0+0], v[vgprValuA_X0_I0+8+0+0], a[8:11]
 // Cr += Ar*Br
/*  mfmaIndex:57  */
v_mfma_f32_16x16x4_f32 a[120+0:123+0], v[vgprValuB_X0_I0+0+0+0], v[vgprValuA_X0_I0+8+0+0+1], a[120:123]
 // Ci += Ai*Br
/*  mfmaIndex:58  */
v_mfma_f32_16x16x4_f32 a[8+0:11+0], v[vgprValuB_X0_I0+0+0+0+1], v141, a[8:11]
 // Cr += -Ai*Bi
/*  mfmaIndex:59  */
v_mfma_f32_16x16x4_f32 a[120+0:123+0], v[vgprValuB_X0_I0+0+0+0+1], v[vgprValuA_X0_I0+8+0+0], a[120:123]
 // Ci += Ar*Bi
/*  mfmaIndex:60  */
v_mfma_f32_16x16x4_f32 a[24+0:27+0], v[vgprValuB_X0_I0+4+0+0], v[vgprValuA_X0_I0+8+0+0], a[24:27]
 // Cr += Ar*Br
/*  mfmaIndex:61  */
v_mfma_f32_16x16x4_f32 a[136+0:139+0], v[vgprValuB_X0_I0+4+0+0], v[vgprValuA_X0_I0+8+0+0+1], a[136:139]
 // Ci += Ai*Br
/*  mfmaIndex:62  */
v_mfma_f32_16x16x4_f32 a[24+0:27+0], v[vgprValuB_X0_I0+4+0+0+1], v141, a[24:27]
 // Cr += -Ai*Bi
/*  mfmaIndex:63  */
v_mfma_f32_16x16x4_f32 a[136+0:139+0], v[vgprValuB_X0_I0+4+0+0+1], v[vgprValuA_X0_I0+8+0+0], a[136:139]
 // Ci += Ar*Bi
/*  mfmaIndex:64  */
v_mfma_f32_16x16x4_f32 a[40+0:43+0], v[vgprValuB_X0_I0+8+0+0], v[vgprValuA_X0_I0+8+0+0], a[40:43]
 // Cr += Ar*Br
/*  mfmaIndex:65  */
/* sched write - iter 0 writesPerItem=1 */
s_waitcnt vmcnt(0)                                 // lgkmcnt=-1 vmcnt=0wait for global read before writing to local
_ds_store_b64 v[vgprLocalWriteAddrA], v[vgprG2LA+4:vgprG2LA+4+1] offset:4608 // lwoA_0_0_2_0 = (0*LSCA)*(MT0I+PAD) + (2*LSPA) = 4608
v_mfma_f32_16x16x4_f32 a[152+0:155+0], v[vgprValuB_X0_I0+8+0+0], v[vgprValuA_X0_I0+8+0+0+1], a[152:155]
 // Ci += Ai*Br
/*  mfmaIndex:66  */
v_mfma_f32_16x16x4_f32 a[40+0:43+0], v[vgprValuB_X0_I0+8+0+0+1], v141, a[40:43]
 // Cr += -Ai*Bi
/*  mfmaIndex:67  */
v_mfma_f32_16x16x4_f32 a[152+0:155+0], v[vgprValuB_X0_I0+8+0+0+1], v[vgprValuA_X0_I0+8+0+0], a[152:155]
 // Ci += Ar*Bi
/*  mfmaIndex:68  */
v_mfma_f32_16x16x4_f32 a[56+0:59+0], v[vgprValuB_X0_I0+12+0+0], v[vgprValuA_X0_I0+8+0+0], a[56:59]
 // Cr += Ar*Br
/*  mfmaIndex:69  */
v_mfma_f32_16x16x4_f32 a[168+0:171+0], v[vgprValuB_X0_I0+12+0+0], v[vgprValuA_X0_I0+8+0+0+1], a[168:171]
 // Ci += Ai*Br
/*  mfmaIndex:70  */
v_mfma_f32_16x16x4_f32 a[56+0:59+0], v[vgprValuB_X0_I0+12+0+0+1], v141, a[56:59]
 // Cr += -Ai*Bi
/*  mfmaIndex:71  */
v_mfma_f32_16x16x4_f32 a[168+0:171+0], v[vgprValuB_X0_I0+12+0+0+1], v[vgprValuA_X0_I0+8+0+0], a[168:171]
 // Ci += Ar*Bi
/*  mfmaIndex:72  */
v_mfma_f32_16x16x4_f32 a[72+0:75+0], v[vgprValuB_X0_I0+16+0+0], v[vgprValuA_X0_I0+8+0+0], a[72:75]
 // Cr += Ar*Br
/*  mfmaIndex:73  */
	;; [unrolled: 12-line block ×4, first 2 shown]
v_mfma_f32_16x16x4_f32 a[216+0:219+0], v[vgprValuB_X0_I0+24+0+0], v[vgprValuA_X0_I0+8+0+0+1], a[216:219]
 // Ci += Ai*Br
/*  mfmaIndex:82  */
v_mfma_f32_16x16x4_f32 a[104+0:107+0], v[vgprValuB_X0_I0+24+0+0+1], v141, a[104:107]
 // Cr += -Ai*Bi
/*  mfmaIndex:83  */
/* sched write - iter 0 writesPerItem=1 */
s_waitcnt vmcnt(0)                                 // lgkmcnt=-1 vmcnt=0wait for global read before writing to local
_ds_store_b64 v[vgprLocalWriteAddrA], v[vgprG2LA+6:vgprG2LA+6+1] offset:6912 // lwoA_0_0_3_0 = (0*LSCA)*(MT0I+PAD) + (3*LSPA) = 6912
v_mfma_f32_16x16x4_f32 a[216+0:219+0], v[vgprValuB_X0_I0+24+0+0+1], v[vgprValuA_X0_I0+8+0+0], a[216:219]
 // Ci += Ar*Bi
/*  mfmaIndex:84  */
v_add_f32 v141, -v[vgprValuA_X0_I0+12+0+0+1], 0    // Ai=-Ai
v_mfma_f32_16x16x4_f32 a[12+0:15+0], v[vgprValuB_X0_I0+0+0+0], v[vgprValuA_X0_I0+12+0+0], a[12:15]
 // Cr += Ar*Br
/*  mfmaIndex:85  */
v_mfma_f32_16x16x4_f32 a[124+0:127+0], v[vgprValuB_X0_I0+0+0+0], v[vgprValuA_X0_I0+12+0+0+1], a[124:127]
 // Ci += Ai*Br
/*  mfmaIndex:86  */
v_mfma_f32_16x16x4_f32 a[12+0:15+0], v[vgprValuB_X0_I0+0+0+0+1], v141, a[12:15]
 // Cr += -Ai*Bi
/*  mfmaIndex:87  */
v_mfma_f32_16x16x4_f32 a[124+0:127+0], v[vgprValuB_X0_I0+0+0+0+1], v[vgprValuA_X0_I0+12+0+0], a[124:127]
 // Ci += Ar*Bi
/*  mfmaIndex:88  */
v_mfma_f32_16x16x4_f32 a[28+0:31+0], v[vgprValuB_X0_I0+4+0+0], v[vgprValuA_X0_I0+12+0+0], a[28:31]
 // Cr += Ar*Br
/*  mfmaIndex:89  */
v_mfma_f32_16x16x4_f32 a[140+0:143+0], v[vgprValuB_X0_I0+4+0+0], v[vgprValuA_X0_I0+12+0+0+1], a[140:143]
 // Ci += Ai*Br
/*  mfmaIndex:90  */
v_mfma_f32_16x16x4_f32 a[28+0:31+0], v[vgprValuB_X0_I0+4+0+0+1], v141, a[28:31]
 // Cr += -Ai*Bi
/*  mfmaIndex:91  */
v_mfma_f32_16x16x4_f32 a[140+0:143+0], v[vgprValuB_X0_I0+4+0+0+1], v[vgprValuA_X0_I0+12+0+0], a[140:143]
 // Ci += Ar*Bi
/*  mfmaIndex:92  */
	;; [unrolled: 12-line block ×4, first 2 shown]
v_mfma_f32_16x16x4_f32 a[76+0:79+0], v[vgprValuB_X0_I0+16+0+0], v[vgprValuA_X0_I0+12+0+0], a[76:79]
 // Cr += Ar*Br
/*  mfmaIndex:101  */
/* sched write - iter 0 writesPerItem=1 */
s_waitcnt vmcnt(0)                                 // lgkmcnt=-1 vmcnt=0wait for global read before writing to local
_ds_store_b64 v[vgprLocalWriteAddrA], v[vgprG2LA+8:vgprG2LA+8+1] offset:9216 // lwoA_0_0_4_0 = (0*LSCA)*(MT0I+PAD) + (4*LSPA) = 9216
v_mfma_f32_16x16x4_f32 a[188+0:191+0], v[vgprValuB_X0_I0+16+0+0], v[vgprValuA_X0_I0+12+0+0+1], a[188:191]
 // Ci += Ai*Br
/*  mfmaIndex:102  */
v_mfma_f32_16x16x4_f32 a[76+0:79+0], v[vgprValuB_X0_I0+16+0+0+1], v141, a[76:79]
 // Cr += -Ai*Bi
/*  mfmaIndex:103  */
v_mfma_f32_16x16x4_f32 a[188+0:191+0], v[vgprValuB_X0_I0+16+0+0+1], v[vgprValuA_X0_I0+12+0+0], a[188:191]
 // Ci += Ar*Bi
/*  mfmaIndex:104  */
v_mfma_f32_16x16x4_f32 a[92+0:95+0], v[vgprValuB_X0_I0+20+0+0], v[vgprValuA_X0_I0+12+0+0], a[92:95]
 // Cr += Ar*Br
/*  mfmaIndex:105  */
v_mfma_f32_16x16x4_f32 a[204+0:207+0], v[vgprValuB_X0_I0+20+0+0], v[vgprValuA_X0_I0+12+0+0+1], a[204:207]
 // Ci += Ai*Br
/*  mfmaIndex:106  */
v_mfma_f32_16x16x4_f32 a[92+0:95+0], v[vgprValuB_X0_I0+20+0+0+1], v141, a[92:95]
 // Cr += -Ai*Bi
/*  mfmaIndex:107  */
v_mfma_f32_16x16x4_f32 a[204+0:207+0], v[vgprValuB_X0_I0+20+0+0+1], v[vgprValuA_X0_I0+12+0+0], a[204:207]
 // Ci += Ar*Bi
/*  mfmaIndex:108  */
v_mfma_f32_16x16x4_f32 a[108+0:111+0], v[vgprValuB_X0_I0+24+0+0], v[vgprValuA_X0_I0+12+0+0], a[108:111]
 // Cr += Ar*Br
/*  mfmaIndex:109  */
v_mfma_f32_16x16x4_f32 a[220+0:223+0], v[vgprValuB_X0_I0+24+0+0], v[vgprValuA_X0_I0+12+0+0+1], a[220:223]
 // Ci += Ai*Br
/*  mfmaIndex:110  */
v_mfma_f32_16x16x4_f32 a[108+0:111+0], v[vgprValuB_X0_I0+24+0+0+1], v141, a[108:111]
 // Cr += -Ai*Bi
/*  mfmaIndex:111  */
v_mfma_f32_16x16x4_f32 a[220+0:223+0], v[vgprValuB_X0_I0+24+0+0+1], v[vgprValuA_X0_I0+12+0+0], a[220:223]
 // Ci += Ar*Bi
/* numPrefetchIter=0 */
/* dataAtIterA=-1 numReadsIterA=1 skipReadsIterA=1 readsPerIterA=4 */
/* dataAtIterB=-1 numReadsIterB=1 skipReadsIterB=1 readsPerIterB=7 */


/* iter 1 */

/*  grEndMfmaIndex:6, lwStartMfmaIndex:29, lwEndMfmaIndex:430  */
/*  numMfmaForLR:15, barrierMfmaIndex:432, LocalWritePerMfma:0.055 */
/*  mfmaIndex:112  */
v_add_f32 v141, -v[vgprValuA_X0_I0+0+2+0+1], 0     // Ai=-Ai
v_mfma_f32_16x16x4_f32 a[0+0:3+0], v[vgprValuB_X0_I0+0+2+0], v[vgprValuA_X0_I0+0+2+0], a[0:3]
 // Cr += Ar*Br
/*  mfmaIndex:113  */
v_mfma_f32_16x16x4_f32 a[112+0:115+0], v[vgprValuB_X0_I0+0+2+0], v[vgprValuA_X0_I0+0+2+0+1], a[112:115]
 // Ci += Ai*Br
/*  mfmaIndex:114  */
v_mfma_f32_16x16x4_f32 a[0+0:3+0], v[vgprValuB_X0_I0+0+2+0+1], v141, a[0:3]
 // Cr += -Ai*Bi
/*  mfmaIndex:115  */
v_mfma_f32_16x16x4_f32 a[112+0:115+0], v[vgprValuB_X0_I0+0+2+0+1], v[vgprValuA_X0_I0+0+2+0], a[112:115]
 // Ci += Ar*Bi
/*  mfmaIndex:116  */
v_mfma_f32_16x16x4_f32 a[16+0:19+0], v[vgprValuB_X0_I0+4+2+0], v[vgprValuA_X0_I0+0+2+0], a[16:19]
 // Cr += Ar*Br
/*  mfmaIndex:117  */
v_mfma_f32_16x16x4_f32 a[128+0:131+0], v[vgprValuB_X0_I0+4+2+0], v[vgprValuA_X0_I0+0+2+0+1], a[128:131]
 // Ci += Ai*Br
/*  mfmaIndex:118  */
v_mfma_f32_16x16x4_f32 a[16+0:19+0], v[vgprValuB_X0_I0+4+2+0+1], v141, a[16:19]
 // Cr += -Ai*Bi
/*  mfmaIndex:119  */
/* sched write - iter 1 writesPerItem=1 */
s_waitcnt vmcnt(0)                                 // lgkmcnt=-1 vmcnt=0wait for global read before writing to local
_ds_store_b64 v[vgprLocalWriteAddrA], v[vgprG2LA+10:vgprG2LA+10+1] offset:11520 // lwoA_0_0_5_0 = (0*LSCA)*(MT0I+PAD) + (5*LSPA) = 11520
v_mfma_f32_16x16x4_f32 a[128+0:131+0], v[vgprValuB_X0_I0+4+2+0+1], v[vgprValuA_X0_I0+0+2+0], a[128:131]
 // Ci += Ar*Bi
/*  mfmaIndex:120  */
v_mfma_f32_16x16x4_f32 a[32+0:35+0], v[vgprValuB_X0_I0+8+2+0], v[vgprValuA_X0_I0+0+2+0], a[32:35]
 // Cr += Ar*Br
/*  mfmaIndex:121  */
v_mfma_f32_16x16x4_f32 a[144+0:147+0], v[vgprValuB_X0_I0+8+2+0], v[vgprValuA_X0_I0+0+2+0+1], a[144:147]
 // Ci += Ai*Br
/*  mfmaIndex:122  */
v_mfma_f32_16x16x4_f32 a[32+0:35+0], v[vgprValuB_X0_I0+8+2+0+1], v141, a[32:35]
 // Cr += -Ai*Bi
/*  mfmaIndex:123  */
v_mfma_f32_16x16x4_f32 a[144+0:147+0], v[vgprValuB_X0_I0+8+2+0+1], v[vgprValuA_X0_I0+0+2+0], a[144:147]
 // Ci += Ar*Bi
/*  mfmaIndex:124  */
v_mfma_f32_16x16x4_f32 a[48+0:51+0], v[vgprValuB_X0_I0+12+2+0], v[vgprValuA_X0_I0+0+2+0], a[48:51]
 // Cr += Ar*Br
/*  mfmaIndex:125  */
v_mfma_f32_16x16x4_f32 a[160+0:163+0], v[vgprValuB_X0_I0+12+2+0], v[vgprValuA_X0_I0+0+2+0+1], a[160:163]
 // Ci += Ai*Br
/*  mfmaIndex:126  */
v_mfma_f32_16x16x4_f32 a[48+0:51+0], v[vgprValuB_X0_I0+12+2+0+1], v141, a[48:51]
 // Cr += -Ai*Bi
/*  mfmaIndex:127  */
	;; [unrolled: 12-line block ×4, first 2 shown]
v_mfma_f32_16x16x4_f32 a[192+0:195+0], v[vgprValuB_X0_I0+20+2+0+1], v[vgprValuA_X0_I0+0+2+0], a[192:195]
 // Ci += Ar*Bi
/*  mfmaIndex:136  */
v_mfma_f32_16x16x4_f32 a[96+0:99+0], v[vgprValuB_X0_I0+24+2+0], v[vgprValuA_X0_I0+0+2+0], a[96:99]
 // Cr += Ar*Br
/*  mfmaIndex:137  */
v_mfma_f32_16x16x4_f32 a[208+0:211+0], v[vgprValuB_X0_I0+24+2+0], v[vgprValuA_X0_I0+0+2+0+1], a[208:211]
 // Ci += Ai*Br
/*  mfmaIndex:138  */
/* sched write - iter 1 writesPerItem=1 */
s_waitcnt vmcnt(0)                                 // lgkmcnt=-1 vmcnt=0wait for global read before writing to local
_ds_store_b64 v[vgprLocalWriteAddrA], v[vgprG2LA+12:vgprG2LA+12+1] offset:13824 // lwoA_0_0_6_0 = (0*LSCA)*(MT0I+PAD) + (6*LSPA) = 13824
v_mfma_f32_16x16x4_f32 a[96+0:99+0], v[vgprValuB_X0_I0+24+2+0+1], v141, a[96:99]
 // Cr += -Ai*Bi
/*  mfmaIndex:139  */
v_mfma_f32_16x16x4_f32 a[208+0:211+0], v[vgprValuB_X0_I0+24+2+0+1], v[vgprValuA_X0_I0+0+2+0], a[208:211]
 // Ci += Ar*Bi
/*  mfmaIndex:140  */
v_add_f32 v141, -v[vgprValuA_X0_I0+4+2+0+1], 0     // Ai=-Ai
v_mfma_f32_16x16x4_f32 a[4+0:7+0], v[vgprValuB_X0_I0+0+2+0], v[vgprValuA_X0_I0+4+2+0], a[4:7]
 // Cr += Ar*Br
/*  mfmaIndex:141  */
v_mfma_f32_16x16x4_f32 a[116+0:119+0], v[vgprValuB_X0_I0+0+2+0], v[vgprValuA_X0_I0+4+2+0+1], a[116:119]
 // Ci += Ai*Br
/*  mfmaIndex:142  */
v_mfma_f32_16x16x4_f32 a[4+0:7+0], v[vgprValuB_X0_I0+0+2+0+1], v141, a[4:7]
 // Cr += -Ai*Bi
/*  mfmaIndex:143  */
v_mfma_f32_16x16x4_f32 a[116+0:119+0], v[vgprValuB_X0_I0+0+2+0+1], v[vgprValuA_X0_I0+4+2+0], a[116:119]
 // Ci += Ar*Bi
/*  mfmaIndex:144  */
v_mfma_f32_16x16x4_f32 a[20+0:23+0], v[vgprValuB_X0_I0+4+2+0], v[vgprValuA_X0_I0+4+2+0], a[20:23]
 // Cr += Ar*Br
/*  mfmaIndex:145  */
v_mfma_f32_16x16x4_f32 a[132+0:135+0], v[vgprValuB_X0_I0+4+2+0], v[vgprValuA_X0_I0+4+2+0+1], a[132:135]
 // Ci += Ai*Br
/*  mfmaIndex:146  */
v_mfma_f32_16x16x4_f32 a[20+0:23+0], v[vgprValuB_X0_I0+4+2+0+1], v141, a[20:23]
 // Cr += -Ai*Bi
/*  mfmaIndex:147  */
v_mfma_f32_16x16x4_f32 a[132+0:135+0], v[vgprValuB_X0_I0+4+2+0+1], v[vgprValuA_X0_I0+4+2+0], a[132:135]
 // Ci += Ar*Bi
/*  mfmaIndex:148  */
	;; [unrolled: 12-line block ×4, first 2 shown]
/* sched write - iter 1 writesPerItem=1 */
s_waitcnt vmcnt(0)                                 // lgkmcnt=-1 vmcnt=0wait for global read before writing to local
_ds_store_b64 v[vgprLocalWriteAddrA], v[vgprG2LA+14:vgprG2LA+14+1] offset:16128 // lwoA_0_0_7_0 = (0*LSCA)*(MT0I+PAD) + (7*LSPA) = 16128
v_mfma_f32_16x16x4_f32 a[68+0:71+0], v[vgprValuB_X0_I0+16+2+0], v[vgprValuA_X0_I0+4+2+0], a[68:71]
 // Cr += Ar*Br
/*  mfmaIndex:157  */
v_mfma_f32_16x16x4_f32 a[180+0:183+0], v[vgprValuB_X0_I0+16+2+0], v[vgprValuA_X0_I0+4+2+0+1], a[180:183]
 // Ci += Ai*Br
/*  mfmaIndex:158  */
v_mfma_f32_16x16x4_f32 a[68+0:71+0], v[vgprValuB_X0_I0+16+2+0+1], v141, a[68:71]
 // Cr += -Ai*Bi
/*  mfmaIndex:159  */
v_mfma_f32_16x16x4_f32 a[180+0:183+0], v[vgprValuB_X0_I0+16+2+0+1], v[vgprValuA_X0_I0+4+2+0], a[180:183]
 // Ci += Ar*Bi
/*  mfmaIndex:160  */
v_mfma_f32_16x16x4_f32 a[84+0:87+0], v[vgprValuB_X0_I0+20+2+0], v[vgprValuA_X0_I0+4+2+0], a[84:87]
 // Cr += Ar*Br
/*  mfmaIndex:161  */
v_mfma_f32_16x16x4_f32 a[196+0:199+0], v[vgprValuB_X0_I0+20+2+0], v[vgprValuA_X0_I0+4+2+0+1], a[196:199]
 // Ci += Ai*Br
/*  mfmaIndex:162  */
v_mfma_f32_16x16x4_f32 a[84+0:87+0], v[vgprValuB_X0_I0+20+2+0+1], v141, a[84:87]
 // Cr += -Ai*Bi
/*  mfmaIndex:163  */
v_mfma_f32_16x16x4_f32 a[196+0:199+0], v[vgprValuB_X0_I0+20+2+0+1], v[vgprValuA_X0_I0+4+2+0], a[196:199]
 // Ci += Ar*Bi
/*  mfmaIndex:164  */
	;; [unrolled: 12-line block ×3, first 2 shown]
v_add_f32 v141, -v[vgprValuA_X0_I0+8+2+0+1], 0     // Ai=-Ai
v_mfma_f32_16x16x4_f32 a[8+0:11+0], v[vgprValuB_X0_I0+0+2+0], v[vgprValuA_X0_I0+8+2+0], a[8:11]
 // Cr += Ar*Br
/*  mfmaIndex:169  */
v_mfma_f32_16x16x4_f32 a[120+0:123+0], v[vgprValuB_X0_I0+0+2+0], v[vgprValuA_X0_I0+8+2+0+1], a[120:123]
 // Ci += Ai*Br
/*  mfmaIndex:170  */
v_mfma_f32_16x16x4_f32 a[8+0:11+0], v[vgprValuB_X0_I0+0+2+0+1], v141, a[8:11]
 // Cr += -Ai*Bi
/*  mfmaIndex:171  */
v_mfma_f32_16x16x4_f32 a[120+0:123+0], v[vgprValuB_X0_I0+0+2+0+1], v[vgprValuA_X0_I0+8+2+0], a[120:123]
 // Ci += Ar*Bi
/*  mfmaIndex:172  */
v_mfma_f32_16x16x4_f32 a[24+0:27+0], v[vgprValuB_X0_I0+4+2+0], v[vgprValuA_X0_I0+8+2+0], a[24:27]
 // Cr += Ar*Br
/*  mfmaIndex:173  */
v_mfma_f32_16x16x4_f32 a[136+0:139+0], v[vgprValuB_X0_I0+4+2+0], v[vgprValuA_X0_I0+8+2+0+1], a[136:139]
 // Ci += Ai*Br
/*  mfmaIndex:174  */
/* sched write - iter 1 writesPerItem=1 */
s_waitcnt vmcnt(0)                                 // lgkmcnt=-1 vmcnt=0wait for global read before writing to local
_ds_store_b64 v[vgprLocalWriteAddrA], v[vgprG2LA+16:vgprG2LA+16+1] offset:18432 // lwoA_0_0_8_0 = (0*LSCA)*(MT0I+PAD) + (8*LSPA) = 18432
v_mfma_f32_16x16x4_f32 a[24+0:27+0], v[vgprValuB_X0_I0+4+2+0+1], v141, a[24:27]
 // Cr += -Ai*Bi
/*  mfmaIndex:175  */
v_mfma_f32_16x16x4_f32 a[136+0:139+0], v[vgprValuB_X0_I0+4+2+0+1], v[vgprValuA_X0_I0+8+2+0], a[136:139]
 // Ci += Ar*Bi
/*  mfmaIndex:176  */
v_mfma_f32_16x16x4_f32 a[40+0:43+0], v[vgprValuB_X0_I0+8+2+0], v[vgprValuA_X0_I0+8+2+0], a[40:43]
 // Cr += Ar*Br
/*  mfmaIndex:177  */
v_mfma_f32_16x16x4_f32 a[152+0:155+0], v[vgprValuB_X0_I0+8+2+0], v[vgprValuA_X0_I0+8+2+0+1], a[152:155]
 // Ci += Ai*Br
/*  mfmaIndex:178  */
v_mfma_f32_16x16x4_f32 a[40+0:43+0], v[vgprValuB_X0_I0+8+2+0+1], v141, a[40:43]
 // Cr += -Ai*Bi
/*  mfmaIndex:179  */
v_mfma_f32_16x16x4_f32 a[152+0:155+0], v[vgprValuB_X0_I0+8+2+0+1], v[vgprValuA_X0_I0+8+2+0], a[152:155]
 // Ci += Ar*Bi
/*  mfmaIndex:180  */
v_mfma_f32_16x16x4_f32 a[56+0:59+0], v[vgprValuB_X0_I0+12+2+0], v[vgprValuA_X0_I0+8+2+0], a[56:59]
 // Cr += Ar*Br
/*  mfmaIndex:181  */
v_mfma_f32_16x16x4_f32 a[168+0:171+0], v[vgprValuB_X0_I0+12+2+0], v[vgprValuA_X0_I0+8+2+0+1], a[168:171]
 // Ci += Ai*Br
/*  mfmaIndex:182  */
	;; [unrolled: 12-line block ×4, first 2 shown]
v_mfma_f32_16x16x4_f32 a[88+0:91+0], v[vgprValuB_X0_I0+20+2+0+1], v141, a[88:91]
 // Cr += -Ai*Bi
/*  mfmaIndex:191  */
v_mfma_f32_16x16x4_f32 a[200+0:203+0], v[vgprValuB_X0_I0+20+2+0+1], v[vgprValuA_X0_I0+8+2+0], a[200:203]
 // Ci += Ar*Bi
/*  mfmaIndex:192  */
/* sched write - iter 1 writesPerItem=1 */
s_waitcnt vmcnt(0)                                 // lgkmcnt=-1 vmcnt=0wait for global read before writing to local
_ds_store_b64 v[vgprLocalWriteAddrA], v[vgprG2LA+18:vgprG2LA+18+1] offset:20736 // lwoA_0_0_9_0 = (0*LSCA)*(MT0I+PAD) + (9*LSPA) = 20736
v_mfma_f32_16x16x4_f32 a[104+0:107+0], v[vgprValuB_X0_I0+24+2+0], v[vgprValuA_X0_I0+8+2+0], a[104:107]
 // Cr += Ar*Br
/*  mfmaIndex:193  */
v_mfma_f32_16x16x4_f32 a[216+0:219+0], v[vgprValuB_X0_I0+24+2+0], v[vgprValuA_X0_I0+8+2+0+1], a[216:219]
 // Ci += Ai*Br
/*  mfmaIndex:194  */
v_mfma_f32_16x16x4_f32 a[104+0:107+0], v[vgprValuB_X0_I0+24+2+0+1], v141, a[104:107]
 // Cr += -Ai*Bi
/*  mfmaIndex:195  */
v_mfma_f32_16x16x4_f32 a[216+0:219+0], v[vgprValuB_X0_I0+24+2+0+1], v[vgprValuA_X0_I0+8+2+0], a[216:219]
 // Ci += Ar*Bi
/*  mfmaIndex:196  */
v_add_f32 v141, -v[vgprValuA_X0_I0+12+2+0+1], 0    // Ai=-Ai
v_mfma_f32_16x16x4_f32 a[12+0:15+0], v[vgprValuB_X0_I0+0+2+0], v[vgprValuA_X0_I0+12+2+0], a[12:15]
 // Cr += Ar*Br
/*  mfmaIndex:197  */
v_mfma_f32_16x16x4_f32 a[124+0:127+0], v[vgprValuB_X0_I0+0+2+0], v[vgprValuA_X0_I0+12+2+0+1], a[124:127]
 // Ci += Ai*Br
/*  mfmaIndex:198  */
v_mfma_f32_16x16x4_f32 a[12+0:15+0], v[vgprValuB_X0_I0+0+2+0+1], v141, a[12:15]
 // Cr += -Ai*Bi
/*  mfmaIndex:199  */
v_mfma_f32_16x16x4_f32 a[124+0:127+0], v[vgprValuB_X0_I0+0+2+0+1], v[vgprValuA_X0_I0+12+2+0], a[124:127]
 // Ci += Ar*Bi
/*  mfmaIndex:200  */
v_mfma_f32_16x16x4_f32 a[28+0:31+0], v[vgprValuB_X0_I0+4+2+0], v[vgprValuA_X0_I0+12+2+0], a[28:31]
 // Cr += Ar*Br
/*  mfmaIndex:201  */
v_mfma_f32_16x16x4_f32 a[140+0:143+0], v[vgprValuB_X0_I0+4+2+0], v[vgprValuA_X0_I0+12+2+0+1], a[140:143]
 // Ci += Ai*Br
/*  mfmaIndex:202  */
v_mfma_f32_16x16x4_f32 a[28+0:31+0], v[vgprValuB_X0_I0+4+2+0+1], v141, a[28:31]
 // Cr += -Ai*Bi
/*  mfmaIndex:203  */
v_mfma_f32_16x16x4_f32 a[140+0:143+0], v[vgprValuB_X0_I0+4+2+0+1], v[vgprValuA_X0_I0+12+2+0], a[140:143]
 // Ci += Ar*Bi
/*  mfmaIndex:204  */
	;; [unrolled: 12-line block ×3, first 2 shown]
v_mfma_f32_16x16x4_f32 a[60+0:63+0], v[vgprValuB_X0_I0+12+2+0], v[vgprValuA_X0_I0+12+2+0], a[60:63]
 // Cr += Ar*Br
/*  mfmaIndex:209  */
v_mfma_f32_16x16x4_f32 a[172+0:175+0], v[vgprValuB_X0_I0+12+2+0], v[vgprValuA_X0_I0+12+2+0+1], a[172:175]
 // Ci += Ai*Br
/*  mfmaIndex:210  */
/* sched write - iter 1 writesPerItem=1 */
s_waitcnt vmcnt(0)                                 // lgkmcnt=-1 vmcnt=0wait for global read before writing to local
_ds_store_b64 v[vgprLocalWriteAddrA], v[vgprG2LA+20:vgprG2LA+20+1] offset:23040 // lwoA_0_0_10_0 = (0*LSCA)*(MT0I+PAD) + (10*LSPA) = 23040
v_mfma_f32_16x16x4_f32 a[60+0:63+0], v[vgprValuB_X0_I0+12+2+0+1], v141, a[60:63]
 // Cr += -Ai*Bi
/*  mfmaIndex:211  */
v_mfma_f32_16x16x4_f32 a[172+0:175+0], v[vgprValuB_X0_I0+12+2+0+1], v[vgprValuA_X0_I0+12+2+0], a[172:175]
 // Ci += Ar*Bi
/*  mfmaIndex:212  */
v_mfma_f32_16x16x4_f32 a[76+0:79+0], v[vgprValuB_X0_I0+16+2+0], v[vgprValuA_X0_I0+12+2+0], a[76:79]
 // Cr += Ar*Br
/*  mfmaIndex:213  */
v_mfma_f32_16x16x4_f32 a[188+0:191+0], v[vgprValuB_X0_I0+16+2+0], v[vgprValuA_X0_I0+12+2+0+1], a[188:191]
 // Ci += Ai*Br
/*  mfmaIndex:214  */
v_mfma_f32_16x16x4_f32 a[76+0:79+0], v[vgprValuB_X0_I0+16+2+0+1], v141, a[76:79]
 // Cr += -Ai*Bi
/*  mfmaIndex:215  */
v_mfma_f32_16x16x4_f32 a[188+0:191+0], v[vgprValuB_X0_I0+16+2+0+1], v[vgprValuA_X0_I0+12+2+0], a[188:191]
 // Ci += Ar*Bi
/*  mfmaIndex:216  */
v_mfma_f32_16x16x4_f32 a[92+0:95+0], v[vgprValuB_X0_I0+20+2+0], v[vgprValuA_X0_I0+12+2+0], a[92:95]
 // Cr += Ar*Br
/*  mfmaIndex:217  */
v_mfma_f32_16x16x4_f32 a[204+0:207+0], v[vgprValuB_X0_I0+20+2+0], v[vgprValuA_X0_I0+12+2+0+1], a[204:207]
 // Ci += Ai*Br
/*  mfmaIndex:218  */
v_mfma_f32_16x16x4_f32 a[92+0:95+0], v[vgprValuB_X0_I0+20+2+0+1], v141, a[92:95]
 // Cr += -Ai*Bi
/*  mfmaIndex:219  */
v_mfma_f32_16x16x4_f32 a[204+0:207+0], v[vgprValuB_X0_I0+20+2+0+1], v[vgprValuA_X0_I0+12+2+0], a[204:207]
 // Ci += Ar*Bi
/*  mfmaIndex:220  */
v_mfma_f32_16x16x4_f32 a[108+0:111+0], v[vgprValuB_X0_I0+24+2+0], v[vgprValuA_X0_I0+12+2+0], a[108:111]
 // Cr += Ar*Br
/*  mfmaIndex:221  */
v_mfma_f32_16x16x4_f32 a[220+0:223+0], v[vgprValuB_X0_I0+24+2+0], v[vgprValuA_X0_I0+12+2+0+1], a[220:223]
 // Ci += Ai*Br
/*  mfmaIndex:222  */
v_mfma_f32_16x16x4_f32 a[108+0:111+0], v[vgprValuB_X0_I0+24+2+0+1], v141, a[108:111]
 // Cr += -Ai*Bi
/*  mfmaIndex:223  */
v_mfma_f32_16x16x4_f32 a[220+0:223+0], v[vgprValuB_X0_I0+24+2+0+1], v[vgprValuA_X0_I0+12+2+0], a[220:223]
 // Ci += Ar*Bi


/* iter 2 (reset local read pointers iteration)  (swap local read pointers iteration)  */

/*  grEndMfmaIndex:6, lwStartMfmaIndex:29, lwEndMfmaIndex:430  */
/*  numMfmaForLR:15, barrierMfmaIndex:432, LocalWritePerMfma:0.055 */
/*  mfmaIndex:224  */
v_add_f32 v141, -v[vgprValuA_X2_I0+0+0+0+1], 0     // Ai=-Ai
v_mfma_f32_16x16x4_f32 a[0+0:3+0], v[vgprValuB_X2_I0+0+0+0], v[vgprValuA_X2_I0+0+0+0], a[0:3]
 // Cr += Ar*Br
/*  mfmaIndex:225  */
v_mfma_f32_16x16x4_f32 a[112+0:115+0], v[vgprValuB_X2_I0+0+0+0], v[vgprValuA_X2_I0+0+0+0+1], a[112:115]
 // Ci += Ai*Br
/*  mfmaIndex:226  */
v_mfma_f32_16x16x4_f32 a[0+0:3+0], v[vgprValuB_X2_I0+0+0+0+1], v141, a[0:3]
 // Cr += -Ai*Bi
/*  mfmaIndex:227  */
v_mfma_f32_16x16x4_f32 a[112+0:115+0], v[vgprValuB_X2_I0+0+0+0+1], v[vgprValuA_X2_I0+0+0+0], a[112:115]
 // Ci += Ar*Bi
/*  mfmaIndex:228  */
v_mfma_f32_16x16x4_f32 a[16+0:19+0], v[vgprValuB_X2_I0+4+0+0], v[vgprValuA_X2_I0+0+0+0], a[16:19]
 // Cr += Ar*Br
/*  mfmaIndex:229  */
/* sched write - iter 2 writesPerItem=1 */
s_waitcnt vmcnt(0)                                 // lgkmcnt=-1 vmcnt=0wait for global read before writing to local
_ds_store_b64 v[vgprLocalWriteAddrA], v[vgprG2LA+22:vgprG2LA+22+1] offset:25344 // lwoA_0_0_11_0 = (0*LSCA)*(MT0I+PAD) + (11*LSPA) = 25344
v_mfma_f32_16x16x4_f32 a[128+0:131+0], v[vgprValuB_X2_I0+4+0+0], v[vgprValuA_X2_I0+0+0+0+1], a[128:131]
 // Ci += Ai*Br
/*  mfmaIndex:230  */
v_mfma_f32_16x16x4_f32 a[16+0:19+0], v[vgprValuB_X2_I0+4+0+0+1], v141, a[16:19]
 // Cr += -Ai*Bi
/*  mfmaIndex:231  */
v_mfma_f32_16x16x4_f32 a[128+0:131+0], v[vgprValuB_X2_I0+4+0+0+1], v[vgprValuA_X2_I0+0+0+0], a[128:131]
 // Ci += Ar*Bi
/*  mfmaIndex:232  */
v_mfma_f32_16x16x4_f32 a[32+0:35+0], v[vgprValuB_X2_I0+8+0+0], v[vgprValuA_X2_I0+0+0+0], a[32:35]
 // Cr += Ar*Br
/*  mfmaIndex:233  */
v_mfma_f32_16x16x4_f32 a[144+0:147+0], v[vgprValuB_X2_I0+8+0+0], v[vgprValuA_X2_I0+0+0+0+1], a[144:147]
 // Ci += Ai*Br
/*  mfmaIndex:234  */
v_mfma_f32_16x16x4_f32 a[32+0:35+0], v[vgprValuB_X2_I0+8+0+0+1], v141, a[32:35]
 // Cr += -Ai*Bi
/*  mfmaIndex:235  */
v_mfma_f32_16x16x4_f32 a[144+0:147+0], v[vgprValuB_X2_I0+8+0+0+1], v[vgprValuA_X2_I0+0+0+0], a[144:147]
 // Ci += Ar*Bi
/*  mfmaIndex:236  */
v_mfma_f32_16x16x4_f32 a[48+0:51+0], v[vgprValuB_X2_I0+12+0+0], v[vgprValuA_X2_I0+0+0+0], a[48:51]
 // Cr += Ar*Br
/*  mfmaIndex:237  */
	;; [unrolled: 12-line block ×4, first 2 shown]
v_mfma_f32_16x16x4_f32 a[192+0:195+0], v[vgprValuB_X2_I0+20+0+0], v[vgprValuA_X2_I0+0+0+0+1], a[192:195]
 // Ci += Ai*Br
/*  mfmaIndex:246  */
v_mfma_f32_16x16x4_f32 a[80+0:83+0], v[vgprValuB_X2_I0+20+0+0+1], v141, a[80:83]
 // Cr += -Ai*Bi
/*  mfmaIndex:247  */
/* sched write - iter 2 writesPerItem=1 */
s_waitcnt vmcnt(0)                                 // lgkmcnt=-1 vmcnt=0wait for global read before writing to local
_ds_store_b64 v[vgprLocalWriteAddrA], v[vgprG2LA+24:vgprG2LA+24+1] offset:27648 // lwoA_0_0_12_0 = (0*LSCA)*(MT0I+PAD) + (12*LSPA) = 27648
v_mfma_f32_16x16x4_f32 a[192+0:195+0], v[vgprValuB_X2_I0+20+0+0+1], v[vgprValuA_X2_I0+0+0+0], a[192:195]
 // Ci += Ar*Bi
/*  mfmaIndex:248  */
v_mfma_f32_16x16x4_f32 a[96+0:99+0], v[vgprValuB_X2_I0+24+0+0], v[vgprValuA_X2_I0+0+0+0], a[96:99]
 // Cr += Ar*Br
/*  mfmaIndex:249  */
v_mfma_f32_16x16x4_f32 a[208+0:211+0], v[vgprValuB_X2_I0+24+0+0], v[vgprValuA_X2_I0+0+0+0+1], a[208:211]
 // Ci += Ai*Br
/*  mfmaIndex:250  */
v_mfma_f32_16x16x4_f32 a[96+0:99+0], v[vgprValuB_X2_I0+24+0+0+1], v141, a[96:99]
 // Cr += -Ai*Bi
/*  mfmaIndex:251  */
v_mfma_f32_16x16x4_f32 a[208+0:211+0], v[vgprValuB_X2_I0+24+0+0+1], v[vgprValuA_X2_I0+0+0+0], a[208:211]
 // Ci += Ar*Bi
/*  mfmaIndex:252  */
v_add_f32 v141, -v[vgprValuA_X2_I0+4+0+0+1], 0     // Ai=-Ai
v_mfma_f32_16x16x4_f32 a[4+0:7+0], v[vgprValuB_X2_I0+0+0+0], v[vgprValuA_X2_I0+4+0+0], a[4:7]
 // Cr += Ar*Br
/*  mfmaIndex:253  */
v_mfma_f32_16x16x4_f32 a[116+0:119+0], v[vgprValuB_X2_I0+0+0+0], v[vgprValuA_X2_I0+4+0+0+1], a[116:119]
 // Ci += Ai*Br
/*  mfmaIndex:254  */
v_mfma_f32_16x16x4_f32 a[4+0:7+0], v[vgprValuB_X2_I0+0+0+0+1], v141, a[4:7]
 // Cr += -Ai*Bi
/*  mfmaIndex:255  */
v_mfma_f32_16x16x4_f32 a[116+0:119+0], v[vgprValuB_X2_I0+0+0+0+1], v[vgprValuA_X2_I0+4+0+0], a[116:119]
 // Ci += Ar*Bi
/*  mfmaIndex:256  */
v_mfma_f32_16x16x4_f32 a[20+0:23+0], v[vgprValuB_X2_I0+4+0+0], v[vgprValuA_X2_I0+4+0+0], a[20:23]
 // Cr += Ar*Br
/*  mfmaIndex:257  */
v_mfma_f32_16x16x4_f32 a[132+0:135+0], v[vgprValuB_X2_I0+4+0+0], v[vgprValuA_X2_I0+4+0+0+1], a[132:135]
 // Ci += Ai*Br
/*  mfmaIndex:258  */
v_mfma_f32_16x16x4_f32 a[20+0:23+0], v[vgprValuB_X2_I0+4+0+0+1], v141, a[20:23]
 // Cr += -Ai*Bi
/*  mfmaIndex:259  */
v_mfma_f32_16x16x4_f32 a[132+0:135+0], v[vgprValuB_X2_I0+4+0+0+1], v[vgprValuA_X2_I0+4+0+0], a[132:135]
 // Ci += Ar*Bi
/*  mfmaIndex:260  */
	;; [unrolled: 12-line block ×3, first 2 shown]
v_mfma_f32_16x16x4_f32 a[52+0:55+0], v[vgprValuB_X2_I0+12+0+0], v[vgprValuA_X2_I0+4+0+0], a[52:55]
 // Cr += Ar*Br
/*  mfmaIndex:265  */
/* sched write - iter 2 writesPerItem=1 */
s_waitcnt vmcnt(0)                                 // lgkmcnt=-1 vmcnt=0wait for global read before writing to local
_ds_store_b64 v[vgprLocalWriteAddrA], v[vgprG2LA+26:vgprG2LA+26+1] offset:29952 // lwoA_0_0_13_0 = (0*LSCA)*(MT0I+PAD) + (13*LSPA) = 29952
v_mfma_f32_16x16x4_f32 a[164+0:167+0], v[vgprValuB_X2_I0+12+0+0], v[vgprValuA_X2_I0+4+0+0+1], a[164:167]
 // Ci += Ai*Br
/*  mfmaIndex:266  */
v_mfma_f32_16x16x4_f32 a[52+0:55+0], v[vgprValuB_X2_I0+12+0+0+1], v141, a[52:55]
 // Cr += -Ai*Bi
/*  mfmaIndex:267  */
v_mfma_f32_16x16x4_f32 a[164+0:167+0], v[vgprValuB_X2_I0+12+0+0+1], v[vgprValuA_X2_I0+4+0+0], a[164:167]
 // Ci += Ar*Bi
/*  mfmaIndex:268  */
v_mfma_f32_16x16x4_f32 a[68+0:71+0], v[vgprValuB_X2_I0+16+0+0], v[vgprValuA_X2_I0+4+0+0], a[68:71]
 // Cr += Ar*Br
/*  mfmaIndex:269  */
v_mfma_f32_16x16x4_f32 a[180+0:183+0], v[vgprValuB_X2_I0+16+0+0], v[vgprValuA_X2_I0+4+0+0+1], a[180:183]
 // Ci += Ai*Br
/*  mfmaIndex:270  */
v_mfma_f32_16x16x4_f32 a[68+0:71+0], v[vgprValuB_X2_I0+16+0+0+1], v141, a[68:71]
 // Cr += -Ai*Bi
/*  mfmaIndex:271  */
v_mfma_f32_16x16x4_f32 a[180+0:183+0], v[vgprValuB_X2_I0+16+0+0+1], v[vgprValuA_X2_I0+4+0+0], a[180:183]
 // Ci += Ar*Bi
/*  mfmaIndex:272  */
v_mfma_f32_16x16x4_f32 a[84+0:87+0], v[vgprValuB_X2_I0+20+0+0], v[vgprValuA_X2_I0+4+0+0], a[84:87]
 // Cr += Ar*Br
/*  mfmaIndex:273  */
v_mfma_f32_16x16x4_f32 a[196+0:199+0], v[vgprValuB_X2_I0+20+0+0], v[vgprValuA_X2_I0+4+0+0+1], a[196:199]
 // Ci += Ai*Br
/*  mfmaIndex:274  */
v_mfma_f32_16x16x4_f32 a[84+0:87+0], v[vgprValuB_X2_I0+20+0+0+1], v141, a[84:87]
 // Cr += -Ai*Bi
/*  mfmaIndex:275  */
v_mfma_f32_16x16x4_f32 a[196+0:199+0], v[vgprValuB_X2_I0+20+0+0+1], v[vgprValuA_X2_I0+4+0+0], a[196:199]
 // Ci += Ar*Bi
/*  mfmaIndex:276  */
v_mfma_f32_16x16x4_f32 a[100+0:103+0], v[vgprValuB_X2_I0+24+0+0], v[vgprValuA_X2_I0+4+0+0], a[100:103]
 // Cr += Ar*Br
/*  mfmaIndex:277  */
v_mfma_f32_16x16x4_f32 a[212+0:215+0], v[vgprValuB_X2_I0+24+0+0], v[vgprValuA_X2_I0+4+0+0+1], a[212:215]
 // Ci += Ai*Br
/*  mfmaIndex:278  */
v_mfma_f32_16x16x4_f32 a[100+0:103+0], v[vgprValuB_X2_I0+24+0+0+1], v141, a[100:103]
 // Cr += -Ai*Bi
/*  mfmaIndex:279  */
v_mfma_f32_16x16x4_f32 a[212+0:215+0], v[vgprValuB_X2_I0+24+0+0+1], v[vgprValuA_X2_I0+4+0+0], a[212:215]
 // Ci += Ar*Bi
/*  mfmaIndex:280  */
v_add_f32 v141, -v[vgprValuA_X2_I0+8+0+0+1], 0     // Ai=-Ai
v_mfma_f32_16x16x4_f32 a[8+0:11+0], v[vgprValuB_X2_I0+0+0+0], v[vgprValuA_X2_I0+8+0+0], a[8:11]
 // Cr += Ar*Br
/*  mfmaIndex:281  */
v_mfma_f32_16x16x4_f32 a[120+0:123+0], v[vgprValuB_X2_I0+0+0+0], v[vgprValuA_X2_I0+8+0+0+1], a[120:123]
 // Ci += Ai*Br
/*  mfmaIndex:282  */
v_mfma_f32_16x16x4_f32 a[8+0:11+0], v[vgprValuB_X2_I0+0+0+0+1], v141, a[8:11]
 // Cr += -Ai*Bi
/*  mfmaIndex:283  */
/* sched write - iter 2 writesPerItem=1 */
s_waitcnt vmcnt(0)                                 // lgkmcnt=-1 vmcnt=0wait for global read before writing to local
_ds_store_b64 v[vgprLocalWriteAddrA], v[vgprG2LA+28:vgprG2LA+28+1] offset:32256 // lwoA_0_0_14_0 = (0*LSCA)*(MT0I+PAD) + (14*LSPA) = 32256
v_mfma_f32_16x16x4_f32 a[120+0:123+0], v[vgprValuB_X2_I0+0+0+0+1], v[vgprValuA_X2_I0+8+0+0], a[120:123]
 // Ci += Ar*Bi
/*  mfmaIndex:284  */
v_mfma_f32_16x16x4_f32 a[24+0:27+0], v[vgprValuB_X2_I0+4+0+0], v[vgprValuA_X2_I0+8+0+0], a[24:27]
 // Cr += Ar*Br
/*  mfmaIndex:285  */
v_mfma_f32_16x16x4_f32 a[136+0:139+0], v[vgprValuB_X2_I0+4+0+0], v[vgprValuA_X2_I0+8+0+0+1], a[136:139]
 // Ci += Ai*Br
/*  mfmaIndex:286  */
v_mfma_f32_16x16x4_f32 a[24+0:27+0], v[vgprValuB_X2_I0+4+0+0+1], v141, a[24:27]
 // Cr += -Ai*Bi
/*  mfmaIndex:287  */
v_mfma_f32_16x16x4_f32 a[136+0:139+0], v[vgprValuB_X2_I0+4+0+0+1], v[vgprValuA_X2_I0+8+0+0], a[136:139]
 // Ci += Ar*Bi
/*  mfmaIndex:288  */
v_mfma_f32_16x16x4_f32 a[40+0:43+0], v[vgprValuB_X2_I0+8+0+0], v[vgprValuA_X2_I0+8+0+0], a[40:43]
 // Cr += Ar*Br
/*  mfmaIndex:289  */
v_mfma_f32_16x16x4_f32 a[152+0:155+0], v[vgprValuB_X2_I0+8+0+0], v[vgprValuA_X2_I0+8+0+0+1], a[152:155]
 // Ci += Ai*Br
/*  mfmaIndex:290  */
v_mfma_f32_16x16x4_f32 a[40+0:43+0], v[vgprValuB_X2_I0+8+0+0+1], v141, a[40:43]
 // Cr += -Ai*Bi
/*  mfmaIndex:291  */
	;; [unrolled: 12-line block ×4, first 2 shown]
v_mfma_f32_16x16x4_f32 a[184+0:187+0], v[vgprValuB_X2_I0+16+0+0+1], v[vgprValuA_X2_I0+8+0+0], a[184:187]
 // Ci += Ar*Bi
/*  mfmaIndex:300  */
v_mfma_f32_16x16x4_f32 a[88+0:91+0], v[vgprValuB_X2_I0+20+0+0], v[vgprValuA_X2_I0+8+0+0], a[88:91]
 // Cr += Ar*Br
/*  mfmaIndex:301  */
/* sched write - iter 2 writesPerItem=1 */
s_waitcnt vmcnt(0)                                 // lgkmcnt=-1 vmcnt=0wait for global read before writing to local
_ds_store_b64 v[vgprLocalWriteAddrA], v[vgprG2LA+30:vgprG2LA+30+1] offset:34560 // lwoA_0_0_15_0 = (0*LSCA)*(MT0I+PAD) + (15*LSPA) = 34560
v_mfma_f32_16x16x4_f32 a[200+0:203+0], v[vgprValuB_X2_I0+20+0+0], v[vgprValuA_X2_I0+8+0+0+1], a[200:203]
 // Ci += Ai*Br
/*  mfmaIndex:302  */
v_mfma_f32_16x16x4_f32 a[88+0:91+0], v[vgprValuB_X2_I0+20+0+0+1], v141, a[88:91]
 // Cr += -Ai*Bi
/*  mfmaIndex:303  */
v_mfma_f32_16x16x4_f32 a[200+0:203+0], v[vgprValuB_X2_I0+20+0+0+1], v[vgprValuA_X2_I0+8+0+0], a[200:203]
 // Ci += Ar*Bi
/*  mfmaIndex:304  */
v_mfma_f32_16x16x4_f32 a[104+0:107+0], v[vgprValuB_X2_I0+24+0+0], v[vgprValuA_X2_I0+8+0+0], a[104:107]
 // Cr += Ar*Br
/*  mfmaIndex:305  */
v_mfma_f32_16x16x4_f32 a[216+0:219+0], v[vgprValuB_X2_I0+24+0+0], v[vgprValuA_X2_I0+8+0+0+1], a[216:219]
 // Ci += Ai*Br
/*  mfmaIndex:306  */
v_mfma_f32_16x16x4_f32 a[104+0:107+0], v[vgprValuB_X2_I0+24+0+0+1], v141, a[104:107]
 // Cr += -Ai*Bi
/*  mfmaIndex:307  */
v_mfma_f32_16x16x4_f32 a[216+0:219+0], v[vgprValuB_X2_I0+24+0+0+1], v[vgprValuA_X2_I0+8+0+0], a[216:219]
 // Ci += Ar*Bi
/*  mfmaIndex:308  */
v_add_f32 v141, -v[vgprValuA_X2_I0+12+0+0+1], 0    // Ai=-Ai
v_mfma_f32_16x16x4_f32 a[12+0:15+0], v[vgprValuB_X2_I0+0+0+0], v[vgprValuA_X2_I0+12+0+0], a[12:15]
 // Cr += Ar*Br
/*  mfmaIndex:309  */
v_mfma_f32_16x16x4_f32 a[124+0:127+0], v[vgprValuB_X2_I0+0+0+0], v[vgprValuA_X2_I0+12+0+0+1], a[124:127]
 // Ci += Ai*Br
/*  mfmaIndex:310  */
v_mfma_f32_16x16x4_f32 a[12+0:15+0], v[vgprValuB_X2_I0+0+0+0+1], v141, a[12:15]
 // Cr += -Ai*Bi
/*  mfmaIndex:311  */
v_mfma_f32_16x16x4_f32 a[124+0:127+0], v[vgprValuB_X2_I0+0+0+0+1], v[vgprValuA_X2_I0+12+0+0], a[124:127]
 // Ci += Ar*Bi
/*  mfmaIndex:312  */
v_mfma_f32_16x16x4_f32 a[28+0:31+0], v[vgprValuB_X2_I0+4+0+0], v[vgprValuA_X2_I0+12+0+0], a[28:31]
 // Cr += Ar*Br
/*  mfmaIndex:313  */
v_mfma_f32_16x16x4_f32 a[140+0:143+0], v[vgprValuB_X2_I0+4+0+0], v[vgprValuA_X2_I0+12+0+0+1], a[140:143]
 // Ci += Ai*Br
/*  mfmaIndex:314  */
v_mfma_f32_16x16x4_f32 a[28+0:31+0], v[vgprValuB_X2_I0+4+0+0+1], v141, a[28:31]
 // Cr += -Ai*Bi
/*  mfmaIndex:315  */
v_mfma_f32_16x16x4_f32 a[140+0:143+0], v[vgprValuB_X2_I0+4+0+0+1], v[vgprValuA_X2_I0+12+0+0], a[140:143]
 // Ci += Ar*Bi
/*  mfmaIndex:316  */
v_mfma_f32_16x16x4_f32 a[44+0:47+0], v[vgprValuB_X2_I0+8+0+0], v[vgprValuA_X2_I0+12+0+0], a[44:47]
 // Cr += Ar*Br
/*  mfmaIndex:317  */
v_mfma_f32_16x16x4_f32 a[156+0:159+0], v[vgprValuB_X2_I0+8+0+0], v[vgprValuA_X2_I0+12+0+0+1], a[156:159]
 // Ci += Ai*Br
/*  mfmaIndex:318  */
v_mfma_f32_16x16x4_f32 a[44+0:47+0], v[vgprValuB_X2_I0+8+0+0+1], v141, a[44:47]
 // Cr += -Ai*Bi
/*  mfmaIndex:319  */
/* sched write - iter 2 writesPerItem=1 */
s_waitcnt vmcnt(0)                                 // lgkmcnt=-1 vmcnt=0wait for global read before writing to local
_ds_store_b64 v[vgprLocalWriteAddrB], v[vgprG2LB+0:vgprG2LB+0+1] offset:0 // lwoB_0_0_0_0 = (0*LSCB)*(MT1J+PAD) + (0*LSPB) = 0
v_mfma_f32_16x16x4_f32 a[156+0:159+0], v[vgprValuB_X2_I0+8+0+0+1], v[vgprValuA_X2_I0+12+0+0], a[156:159]
 // Ci += Ar*Bi
/*  mfmaIndex:320  */
v_mfma_f32_16x16x4_f32 a[60+0:63+0], v[vgprValuB_X2_I0+12+0+0], v[vgprValuA_X2_I0+12+0+0], a[60:63]
 // Cr += Ar*Br
/*  mfmaIndex:321  */
v_mfma_f32_16x16x4_f32 a[172+0:175+0], v[vgprValuB_X2_I0+12+0+0], v[vgprValuA_X2_I0+12+0+0+1], a[172:175]
 // Ci += Ai*Br
/*  mfmaIndex:322  */
v_mfma_f32_16x16x4_f32 a[60+0:63+0], v[vgprValuB_X2_I0+12+0+0+1], v141, a[60:63]
 // Cr += -Ai*Bi
/*  mfmaIndex:323  */
v_mfma_f32_16x16x4_f32 a[172+0:175+0], v[vgprValuB_X2_I0+12+0+0+1], v[vgprValuA_X2_I0+12+0+0], a[172:175]
 // Ci += Ar*Bi
/*  mfmaIndex:324  */
v_mfma_f32_16x16x4_f32 a[76+0:79+0], v[vgprValuB_X2_I0+16+0+0], v[vgprValuA_X2_I0+12+0+0], a[76:79]
 // Cr += Ar*Br
/*  mfmaIndex:325  */
v_mfma_f32_16x16x4_f32 a[188+0:191+0], v[vgprValuB_X2_I0+16+0+0], v[vgprValuA_X2_I0+12+0+0+1], a[188:191]
 // Ci += Ai*Br
/*  mfmaIndex:326  */
v_mfma_f32_16x16x4_f32 a[76+0:79+0], v[vgprValuB_X2_I0+16+0+0+1], v141, a[76:79]
 // Cr += -Ai*Bi
/*  mfmaIndex:327  */
	;; [unrolled: 12-line block ×4, first 2 shown]

/* local read swap offsets a */

/* local read swap offsets b */

/* local read init pointers a */

/* localReadInitPointers */

/* local read init pointers b */

/* localReadInitPointers */
v_mfma_f32_16x16x4_f32 a[220+0:223+0], v[vgprValuB_X2_I0+24+0+0+1], v[vgprValuA_X2_I0+12+0+0], a[220:223]
 // Ci += Ar*Bi


/* iter 3 (swap and reset local write pointers iteration)  */

/*  grEndMfmaIndex:6, lwStartMfmaIndex:29, lwEndMfmaIndex:430  */
/*  numMfmaForLR:15, barrierMfmaIndex:432, LocalWritePerMfma:0.055 */
/*  mfmaIndex:336  */
v_add_f32 v141, -v[vgprValuA_X2_I0+0+2+0+1], 0     // Ai=-Ai
v_mfma_f32_16x16x4_f32 a[0+0:3+0], v[vgprValuB_X2_I0+0+2+0], v[vgprValuA_X2_I0+0+2+0], a[0:3]
 // Cr += Ar*Br
/*  mfmaIndex:337  */
v_mfma_f32_16x16x4_f32 a[112+0:115+0], v[vgprValuB_X2_I0+0+2+0], v[vgprValuA_X2_I0+0+2+0+1], a[112:115]
 // Ci += Ai*Br
/*  mfmaIndex:338  */
/* sched write - iter 3 writesPerItem=1 */
s_waitcnt vmcnt(0)                                 // lgkmcnt=-1 vmcnt=0wait for global read before writing to local
_ds_store_b64 v[vgprLocalWriteAddrB], v[vgprG2LB+2:vgprG2LB+2+1] offset:2560 // lwoB_0_0_1_0 = (0*LSCB)*(MT1J+PAD) + (1*LSPB) = 2560
v_mfma_f32_16x16x4_f32 a[0+0:3+0], v[vgprValuB_X2_I0+0+2+0+1], v141, a[0:3]
 // Cr += -Ai*Bi
/*  mfmaIndex:339  */
v_mfma_f32_16x16x4_f32 a[112+0:115+0], v[vgprValuB_X2_I0+0+2+0+1], v[vgprValuA_X2_I0+0+2+0], a[112:115]
 // Ci += Ar*Bi
/*  mfmaIndex:340  */
v_mfma_f32_16x16x4_f32 a[16+0:19+0], v[vgprValuB_X2_I0+4+2+0], v[vgprValuA_X2_I0+0+2+0], a[16:19]
 // Cr += Ar*Br
/*  mfmaIndex:341  */
v_mfma_f32_16x16x4_f32 a[128+0:131+0], v[vgprValuB_X2_I0+4+2+0], v[vgprValuA_X2_I0+0+2+0+1], a[128:131]
 // Ci += Ai*Br
/*  mfmaIndex:342  */
v_mfma_f32_16x16x4_f32 a[16+0:19+0], v[vgprValuB_X2_I0+4+2+0+1], v141, a[16:19]
 // Cr += -Ai*Bi
/*  mfmaIndex:343  */
v_mfma_f32_16x16x4_f32 a[128+0:131+0], v[vgprValuB_X2_I0+4+2+0+1], v[vgprValuA_X2_I0+0+2+0], a[128:131]
 // Ci += Ar*Bi
/*  mfmaIndex:344  */
v_mfma_f32_16x16x4_f32 a[32+0:35+0], v[vgprValuB_X2_I0+8+2+0], v[vgprValuA_X2_I0+0+2+0], a[32:35]
 // Cr += Ar*Br
/*  mfmaIndex:345  */
v_mfma_f32_16x16x4_f32 a[144+0:147+0], v[vgprValuB_X2_I0+8+2+0], v[vgprValuA_X2_I0+0+2+0+1], a[144:147]
 // Ci += Ai*Br
/*  mfmaIndex:346  */
	;; [unrolled: 12-line block ×4, first 2 shown]
v_mfma_f32_16x16x4_f32 a[64+0:67+0], v[vgprValuB_X2_I0+16+2+0+1], v141, a[64:67]
 // Cr += -Ai*Bi
/*  mfmaIndex:355  */
v_mfma_f32_16x16x4_f32 a[176+0:179+0], v[vgprValuB_X2_I0+16+2+0+1], v[vgprValuA_X2_I0+0+2+0], a[176:179]
 // Ci += Ar*Bi
/*  mfmaIndex:356  */
/* sched write - iter 3 writesPerItem=1 */
s_waitcnt vmcnt(0)                                 // lgkmcnt=-1 vmcnt=0wait for global read before writing to local
_ds_store_b64 v[vgprLocalWriteAddrB], v[vgprG2LB+4:vgprG2LB+4+1] offset:5120 // lwoB_0_0_2_0 = (0*LSCB)*(MT1J+PAD) + (2*LSPB) = 5120
v_mfma_f32_16x16x4_f32 a[80+0:83+0], v[vgprValuB_X2_I0+20+2+0], v[vgprValuA_X2_I0+0+2+0], a[80:83]
 // Cr += Ar*Br
/*  mfmaIndex:357  */
v_mfma_f32_16x16x4_f32 a[192+0:195+0], v[vgprValuB_X2_I0+20+2+0], v[vgprValuA_X2_I0+0+2+0+1], a[192:195]
 // Ci += Ai*Br
/*  mfmaIndex:358  */
v_mfma_f32_16x16x4_f32 a[80+0:83+0], v[vgprValuB_X2_I0+20+2+0+1], v141, a[80:83]
 // Cr += -Ai*Bi
/*  mfmaIndex:359  */
v_mfma_f32_16x16x4_f32 a[192+0:195+0], v[vgprValuB_X2_I0+20+2+0+1], v[vgprValuA_X2_I0+0+2+0], a[192:195]
 // Ci += Ar*Bi
/*  mfmaIndex:360  */
v_mfma_f32_16x16x4_f32 a[96+0:99+0], v[vgprValuB_X2_I0+24+2+0], v[vgprValuA_X2_I0+0+2+0], a[96:99]
 // Cr += Ar*Br
/*  mfmaIndex:361  */
v_mfma_f32_16x16x4_f32 a[208+0:211+0], v[vgprValuB_X2_I0+24+2+0], v[vgprValuA_X2_I0+0+2+0+1], a[208:211]
 // Ci += Ai*Br
/*  mfmaIndex:362  */
v_mfma_f32_16x16x4_f32 a[96+0:99+0], v[vgprValuB_X2_I0+24+2+0+1], v141, a[96:99]
 // Cr += -Ai*Bi
/*  mfmaIndex:363  */
v_mfma_f32_16x16x4_f32 a[208+0:211+0], v[vgprValuB_X2_I0+24+2+0+1], v[vgprValuA_X2_I0+0+2+0], a[208:211]
 // Ci += Ar*Bi
/*  mfmaIndex:364  */
v_add_f32 v141, -v[vgprValuA_X2_I0+4+2+0+1], 0     // Ai=-Ai
v_mfma_f32_16x16x4_f32 a[4+0:7+0], v[vgprValuB_X2_I0+0+2+0], v[vgprValuA_X2_I0+4+2+0], a[4:7]
 // Cr += Ar*Br
/*  mfmaIndex:365  */
v_mfma_f32_16x16x4_f32 a[116+0:119+0], v[vgprValuB_X2_I0+0+2+0], v[vgprValuA_X2_I0+4+2+0+1], a[116:119]
 // Ci += Ai*Br
/*  mfmaIndex:366  */
v_mfma_f32_16x16x4_f32 a[4+0:7+0], v[vgprValuB_X2_I0+0+2+0+1], v141, a[4:7]
 // Cr += -Ai*Bi
/*  mfmaIndex:367  */
v_mfma_f32_16x16x4_f32 a[116+0:119+0], v[vgprValuB_X2_I0+0+2+0+1], v[vgprValuA_X2_I0+4+2+0], a[116:119]
 // Ci += Ar*Bi
/*  mfmaIndex:368  */
v_mfma_f32_16x16x4_f32 a[20+0:23+0], v[vgprValuB_X2_I0+4+2+0], v[vgprValuA_X2_I0+4+2+0], a[20:23]
 // Cr += Ar*Br
/*  mfmaIndex:369  */
v_mfma_f32_16x16x4_f32 a[132+0:135+0], v[vgprValuB_X2_I0+4+2+0], v[vgprValuA_X2_I0+4+2+0+1], a[132:135]
 // Ci += Ai*Br
/*  mfmaIndex:370  */
v_mfma_f32_16x16x4_f32 a[20+0:23+0], v[vgprValuB_X2_I0+4+2+0+1], v141, a[20:23]
 // Cr += -Ai*Bi
/*  mfmaIndex:371  */
v_mfma_f32_16x16x4_f32 a[132+0:135+0], v[vgprValuB_X2_I0+4+2+0+1], v[vgprValuA_X2_I0+4+2+0], a[132:135]
 // Ci += Ar*Bi
/*  mfmaIndex:372  */
v_mfma_f32_16x16x4_f32 a[36+0:39+0], v[vgprValuB_X2_I0+8+2+0], v[vgprValuA_X2_I0+4+2+0], a[36:39]
 // Cr += Ar*Br
/*  mfmaIndex:373  */
v_mfma_f32_16x16x4_f32 a[148+0:151+0], v[vgprValuB_X2_I0+8+2+0], v[vgprValuA_X2_I0+4+2+0+1], a[148:151]
 // Ci += Ai*Br
/*  mfmaIndex:374  */
/* sched write - iter 3 writesPerItem=1 */
s_waitcnt vmcnt(0)                                 // lgkmcnt=-1 vmcnt=0wait for global read before writing to local
_ds_store_b64 v[vgprLocalWriteAddrB], v[vgprG2LB+6:vgprG2LB+6+1] offset:7680 // lwoB_0_0_3_0 = (0*LSCB)*(MT1J+PAD) + (3*LSPB) = 7680
v_mfma_f32_16x16x4_f32 a[36+0:39+0], v[vgprValuB_X2_I0+8+2+0+1], v141, a[36:39]
 // Cr += -Ai*Bi
/*  mfmaIndex:375  */
v_mfma_f32_16x16x4_f32 a[148+0:151+0], v[vgprValuB_X2_I0+8+2+0+1], v[vgprValuA_X2_I0+4+2+0], a[148:151]
 // Ci += Ar*Bi
/*  mfmaIndex:376  */
v_mfma_f32_16x16x4_f32 a[52+0:55+0], v[vgprValuB_X2_I0+12+2+0], v[vgprValuA_X2_I0+4+2+0], a[52:55]
 // Cr += Ar*Br
/*  mfmaIndex:377  */
v_mfma_f32_16x16x4_f32 a[164+0:167+0], v[vgprValuB_X2_I0+12+2+0], v[vgprValuA_X2_I0+4+2+0+1], a[164:167]
 // Ci += Ai*Br
/*  mfmaIndex:378  */
v_mfma_f32_16x16x4_f32 a[52+0:55+0], v[vgprValuB_X2_I0+12+2+0+1], v141, a[52:55]
 // Cr += -Ai*Bi
/*  mfmaIndex:379  */
v_mfma_f32_16x16x4_f32 a[164+0:167+0], v[vgprValuB_X2_I0+12+2+0+1], v[vgprValuA_X2_I0+4+2+0], a[164:167]
 // Ci += Ar*Bi
/*  mfmaIndex:380  */
v_mfma_f32_16x16x4_f32 a[68+0:71+0], v[vgprValuB_X2_I0+16+2+0], v[vgprValuA_X2_I0+4+2+0], a[68:71]
 // Cr += Ar*Br
/*  mfmaIndex:381  */
v_mfma_f32_16x16x4_f32 a[180+0:183+0], v[vgprValuB_X2_I0+16+2+0], v[vgprValuA_X2_I0+4+2+0+1], a[180:183]
 // Ci += Ai*Br
/*  mfmaIndex:382  */
	;; [unrolled: 12-line block ×4, first 2 shown]
v_mfma_f32_16x16x4_f32 a[100+0:103+0], v[vgprValuB_X2_I0+24+2+0+1], v141, a[100:103]
 // Cr += -Ai*Bi
/*  mfmaIndex:391  */
v_mfma_f32_16x16x4_f32 a[212+0:215+0], v[vgprValuB_X2_I0+24+2+0+1], v[vgprValuA_X2_I0+4+2+0], a[212:215]
 // Ci += Ar*Bi
/*  mfmaIndex:392  */
/* sched write - iter 3 writesPerItem=1 */
s_waitcnt vmcnt(0)                                 // lgkmcnt=-1 vmcnt=0wait for global read before writing to local
_ds_store_b64 v[vgprLocalWriteAddrB], v[vgprG2LB+8:vgprG2LB+8+1] offset:10240 // lwoB_0_0_4_0 = (0*LSCB)*(MT1J+PAD) + (4*LSPB) = 10240
v_add_f32 v141, -v[vgprValuA_X2_I0+8+2+0+1], 0     // Ai=-Ai
v_mfma_f32_16x16x4_f32 a[8+0:11+0], v[vgprValuB_X2_I0+0+2+0], v[vgprValuA_X2_I0+8+2+0], a[8:11]
 // Cr += Ar*Br
/*  mfmaIndex:393  */
v_mfma_f32_16x16x4_f32 a[120+0:123+0], v[vgprValuB_X2_I0+0+2+0], v[vgprValuA_X2_I0+8+2+0+1], a[120:123]
 // Ci += Ai*Br
/*  mfmaIndex:394  */
v_mfma_f32_16x16x4_f32 a[8+0:11+0], v[vgprValuB_X2_I0+0+2+0+1], v141, a[8:11]
 // Cr += -Ai*Bi
/*  mfmaIndex:395  */
v_mfma_f32_16x16x4_f32 a[120+0:123+0], v[vgprValuB_X2_I0+0+2+0+1], v[vgprValuA_X2_I0+8+2+0], a[120:123]
 // Ci += Ar*Bi
/*  mfmaIndex:396  */
v_mfma_f32_16x16x4_f32 a[24+0:27+0], v[vgprValuB_X2_I0+4+2+0], v[vgprValuA_X2_I0+8+2+0], a[24:27]
 // Cr += Ar*Br
/*  mfmaIndex:397  */
v_mfma_f32_16x16x4_f32 a[136+0:139+0], v[vgprValuB_X2_I0+4+2+0], v[vgprValuA_X2_I0+8+2+0+1], a[136:139]
 // Ci += Ai*Br
/*  mfmaIndex:398  */
v_mfma_f32_16x16x4_f32 a[24+0:27+0], v[vgprValuB_X2_I0+4+2+0+1], v141, a[24:27]
 // Cr += -Ai*Bi
/*  mfmaIndex:399  */
v_mfma_f32_16x16x4_f32 a[136+0:139+0], v[vgprValuB_X2_I0+4+2+0+1], v[vgprValuA_X2_I0+8+2+0], a[136:139]
 // Ci += Ar*Bi
/*  mfmaIndex:400  */
	;; [unrolled: 12-line block ×4, first 2 shown]
v_mfma_f32_16x16x4_f32 a[72+0:75+0], v[vgprValuB_X2_I0+16+2+0], v[vgprValuA_X2_I0+8+2+0], a[72:75]
 // Cr += Ar*Br
/*  mfmaIndex:409  */
v_mfma_f32_16x16x4_f32 a[184+0:187+0], v[vgprValuB_X2_I0+16+2+0], v[vgprValuA_X2_I0+8+2+0+1], a[184:187]
 // Ci += Ai*Br
/*  mfmaIndex:410  */
/* sched write - iter 3 writesPerItem=1 */
s_waitcnt vmcnt(0)                                 // lgkmcnt=-1 vmcnt=0wait for global read before writing to local
_ds_store_b64 v[vgprLocalWriteAddrB], v[vgprG2LB+10:vgprG2LB+10+1] offset:12800 // lwoB_0_0_5_0 = (0*LSCB)*(MT1J+PAD) + (5*LSPB) = 12800
v_mfma_f32_16x16x4_f32 a[72+0:75+0], v[vgprValuB_X2_I0+16+2+0+1], v141, a[72:75]
 // Cr += -Ai*Bi
/*  mfmaIndex:411  */
v_mfma_f32_16x16x4_f32 a[184+0:187+0], v[vgprValuB_X2_I0+16+2+0+1], v[vgprValuA_X2_I0+8+2+0], a[184:187]
 // Ci += Ar*Bi
/*  mfmaIndex:412  */
v_mfma_f32_16x16x4_f32 a[88+0:91+0], v[vgprValuB_X2_I0+20+2+0], v[vgprValuA_X2_I0+8+2+0], a[88:91]
 // Cr += Ar*Br
/*  mfmaIndex:413  */
v_mfma_f32_16x16x4_f32 a[200+0:203+0], v[vgprValuB_X2_I0+20+2+0], v[vgprValuA_X2_I0+8+2+0+1], a[200:203]
 // Ci += Ai*Br
/*  mfmaIndex:414  */
v_mfma_f32_16x16x4_f32 a[88+0:91+0], v[vgprValuB_X2_I0+20+2+0+1], v141, a[88:91]
 // Cr += -Ai*Bi
/*  mfmaIndex:415  */
v_mfma_f32_16x16x4_f32 a[200+0:203+0], v[vgprValuB_X2_I0+20+2+0+1], v[vgprValuA_X2_I0+8+2+0], a[200:203]
 // Ci += Ar*Bi
/*  mfmaIndex:416  */
v_mfma_f32_16x16x4_f32 a[104+0:107+0], v[vgprValuB_X2_I0+24+2+0], v[vgprValuA_X2_I0+8+2+0], a[104:107]
 // Cr += Ar*Br
/*  mfmaIndex:417  */
v_mfma_f32_16x16x4_f32 a[216+0:219+0], v[vgprValuB_X2_I0+24+2+0], v[vgprValuA_X2_I0+8+2+0+1], a[216:219]
 // Ci += Ai*Br
/*  mfmaIndex:418  */
v_mfma_f32_16x16x4_f32 a[104+0:107+0], v[vgprValuB_X2_I0+24+2+0+1], v141, a[104:107]
 // Cr += -Ai*Bi
/*  mfmaIndex:419  */
v_mfma_f32_16x16x4_f32 a[216+0:219+0], v[vgprValuB_X2_I0+24+2+0+1], v[vgprValuA_X2_I0+8+2+0], a[216:219]
 // Ci += Ar*Bi
/*  mfmaIndex:420  */
v_add_f32 v141, -v[vgprValuA_X2_I0+12+2+0+1], 0    // Ai=-Ai
v_mfma_f32_16x16x4_f32 a[12+0:15+0], v[vgprValuB_X2_I0+0+2+0], v[vgprValuA_X2_I0+12+2+0], a[12:15]
 // Cr += Ar*Br
/*  mfmaIndex:421  */
v_mfma_f32_16x16x4_f32 a[124+0:127+0], v[vgprValuB_X2_I0+0+2+0], v[vgprValuA_X2_I0+12+2+0+1], a[124:127]
 // Ci += Ai*Br
/*  mfmaIndex:422  */
v_mfma_f32_16x16x4_f32 a[12+0:15+0], v[vgprValuB_X2_I0+0+2+0+1], v141, a[12:15]
 // Cr += -Ai*Bi
/*  mfmaIndex:423  */
v_mfma_f32_16x16x4_f32 a[124+0:127+0], v[vgprValuB_X2_I0+0+2+0+1], v[vgprValuA_X2_I0+12+2+0], a[124:127]
 // Ci += Ar*Bi
/*  mfmaIndex:424  */
v_mfma_f32_16x16x4_f32 a[28+0:31+0], v[vgprValuB_X2_I0+4+2+0], v[vgprValuA_X2_I0+12+2+0], a[28:31]
 // Cr += Ar*Br
/*  mfmaIndex:425  */
v_mfma_f32_16x16x4_f32 a[140+0:143+0], v[vgprValuB_X2_I0+4+2+0], v[vgprValuA_X2_I0+12+2+0+1], a[140:143]
 // Ci += Ai*Br
/*  mfmaIndex:426  */
v_mfma_f32_16x16x4_f32 a[28+0:31+0], v[vgprValuB_X2_I0+4+2+0+1], v141, a[28:31]
 // Cr += -Ai*Bi
/*  mfmaIndex:427  */
v_mfma_f32_16x16x4_f32 a[140+0:143+0], v[vgprValuB_X2_I0+4+2+0+1], v[vgprValuA_X2_I0+12+2+0], a[140:143]
 // Ci += Ar*Bi
/*  mfmaIndex:428  */
v_mfma_f32_16x16x4_f32 a[44+0:47+0], v[vgprValuB_X2_I0+8+2+0], v[vgprValuA_X2_I0+12+2+0], a[44:47]
 // Cr += Ar*Br
/*  mfmaIndex:429  */
/* sched write - iter 3 writesPerItem=1 */
s_waitcnt vmcnt(0)                                 // lgkmcnt=-1 vmcnt=0wait for global read before writing to local
_ds_store_b64 v[vgprLocalWriteAddrB], v[vgprG2LB+12:vgprG2LB+12+1] offset:15360 // lwoB_0_0_6_0 = (0*LSCB)*(MT1J+PAD) + (6*LSPB) = 15360
v_mfma_f32_16x16x4_f32 a[156+0:159+0], v[vgprValuB_X2_I0+8+2+0], v[vgprValuA_X2_I0+12+2+0+1], a[156:159]
 // Ci += Ai*Br
/*  mfmaIndex:430  */

/* local write swap offsets a */

/* local write swap offsets b */
v_mfma_f32_16x16x4_f32 a[44+0:47+0], v[vgprValuB_X2_I0+8+2+0+1], v141, a[44:47]
 // Cr += -Ai*Bi
/*  mfmaIndex:431  */
v_mfma_f32_16x16x4_f32 a[156+0:159+0], v[vgprValuB_X2_I0+8+2+0+1], v[vgprValuA_X2_I0+12+2+0], a[156:159]
 // Ci += Ar*Bi
s_setprio 0                                        // store optimization
/*  mfmaIndex:432  */
s_waitcnt lgkmcnt(0)                               // lgkmcnt=0 vmcnt=-13wait for local write
// Skip force waitcnt0
s_barrier //
v_mfma_f32_16x16x4_f32 a[60+0:63+0], v[vgprValuB_X2_I0+12+2+0], v[vgprValuA_X2_I0+12+2+0], a[60:63]
 // Cr += Ar*Br
/*  mfmaIndex:433  */
s_setprio 3                                        // store optimization
_ds_load_b128 v[vgprValuA_X0_I0+0:vgprValuA_X0_I0+0+3], v[vgprLocalReadAddrA] offset:0 // L -> Reg lro=0 swapByteOffset=0 ti=128 vIdx=0 rIdx=0 oIdx=0 buffer=0 iui=0
v_mfma_f32_16x16x4_f32 a[172+0:175+0], v[vgprValuB_X2_I0+12+2+0], v[vgprValuA_X2_I0+12+2+0+1], a[172:175]
 // Ci += Ai*Br
/*  mfmaIndex:434  */
_ds_load_b128 v[vgprValuB_X0_I0+0:vgprValuB_X0_I0+0+3], v[vgprLocalReadAddrB] offset:0 // L -> Reg lro=0 swapByteOffset=0 ti=16 vIdx=0 rIdx=0 oIdx=0 buffer=0 iui=0
v_mfma_f32_16x16x4_f32 a[60+0:63+0], v[vgprValuB_X2_I0+12+2+0+1], v141, a[60:63]
 // Cr += -Ai*Bi
/*  mfmaIndex:435  */
_ds_load_b128 v[vgprValuA_X0_I0+4:vgprValuA_X0_I0+4+3], v[vgprLocalReadAddrA] offset:128 // L -> Reg lro=0 swapByteOffset=0 ti=128 vIdx=0 rIdx=0 oIdx=0 buffer=0 iui=0
v_mfma_f32_16x16x4_f32 a[172+0:175+0], v[vgprValuB_X2_I0+12+2+0+1], v[vgprValuA_X2_I0+12+2+0], a[172:175]
 // Ci += Ar*Bi
/*  mfmaIndex:436  */
_ds_load_b128 v[vgprValuA_X0_I0+8:vgprValuA_X0_I0+8+3], v[vgprLocalReadAddrA] offset:18432 // L -> Reg lro=0 swapByteOffset=0 ti=128 vIdx=1 rIdx=0 oIdx=0 buffer=0 iui=0
v_mfma_f32_16x16x4_f32 a[76+0:79+0], v[vgprValuB_X2_I0+16+2+0], v[vgprValuA_X2_I0+12+2+0], a[76:79]
 // Cr += Ar*Br
/*  mfmaIndex:437  */
_ds_load_b128 v[vgprValuA_X0_I0+12:vgprValuA_X0_I0+12+3], v[vgprLocalReadAddrA] offset:18560 // L -> Reg lro=0 swapByteOffset=0 ti=128 vIdx=1 rIdx=0 oIdx=0 buffer=0 iui=0
v_mfma_f32_16x16x4_f32 a[188+0:191+0], v[vgprValuB_X2_I0+16+2+0], v[vgprValuA_X2_I0+12+2+0+1], a[188:191]
 // Ci += Ai*Br
/*  mfmaIndex:438  */
_ds_load_b128 v[vgprValuB_X0_I0+4:vgprValuB_X0_I0+4+3], v[vgprLocalReadAddrB] offset:2560 // L -> Reg lro=0 swapByteOffset=0 ti=16 vIdx=1 rIdx=0 oIdx=0 buffer=0 iui=0
v_mfma_f32_16x16x4_f32 a[76+0:79+0], v[vgprValuB_X2_I0+16+2+0+1], v141, a[76:79]
 // Cr += -Ai*Bi
/*  mfmaIndex:439  */
_ds_load_b128 v[vgprValuB_X0_I0+8:vgprValuB_X0_I0+8+3], v[vgprLocalReadAddrB] offset:5120 // L -> Reg lro=0 swapByteOffset=0 ti=16 vIdx=2 rIdx=0 oIdx=0 buffer=0 iui=0
v_mfma_f32_16x16x4_f32 a[188+0:191+0], v[vgprValuB_X2_I0+16+2+0+1], v[vgprValuA_X2_I0+12+2+0], a[188:191]
 // Ci += Ar*Bi
/*  mfmaIndex:440  */
_ds_load_b128 v[vgprValuB_X0_I0+12:vgprValuB_X0_I0+12+3], v[vgprLocalReadAddrB] offset:7680 // L -> Reg lro=0 swapByteOffset=0 ti=16 vIdx=3 rIdx=0 oIdx=0 buffer=0 iui=0
v_mfma_f32_16x16x4_f32 a[92+0:95+0], v[vgprValuB_X2_I0+20+2+0], v[vgprValuA_X2_I0+12+2+0], a[92:95]
 // Cr += Ar*Br
/*  mfmaIndex:441  */
_ds_load_b128 v[vgprValuB_X0_I0+16:vgprValuB_X0_I0+16+3], v[vgprLocalReadAddrB] offset:10240 // L -> Reg lro=0 swapByteOffset=0 ti=16 vIdx=4 rIdx=0 oIdx=0 buffer=0 iui=0
v_mfma_f32_16x16x4_f32 a[204+0:207+0], v[vgprValuB_X2_I0+20+2+0], v[vgprValuA_X2_I0+12+2+0+1], a[204:207]
 // Ci += Ai*Br
/*  mfmaIndex:442  */
_ds_load_b128 v[vgprValuB_X0_I0+20:vgprValuB_X0_I0+20+3], v[vgprLocalReadAddrB] offset:12800 // L -> Reg lro=0 swapByteOffset=0 ti=16 vIdx=5 rIdx=0 oIdx=0 buffer=0 iui=0
v_mfma_f32_16x16x4_f32 a[92+0:95+0], v[vgprValuB_X2_I0+20+2+0+1], v141, a[92:95]
 // Cr += -Ai*Bi
/*  mfmaIndex:443  */
_ds_load_b128 v[vgprValuB_X0_I0+24:vgprValuB_X0_I0+24+3], v[vgprLocalReadAddrB] offset:15360 // L -> Reg lro=0 swapByteOffset=0 ti=16 vIdx=6 rIdx=0 oIdx=0 buffer=0 iui=0
v_mfma_f32_16x16x4_f32 a[204+0:207+0], v[vgprValuB_X2_I0+20+2+0+1], v[vgprValuA_X2_I0+12+2+0], a[204:207]
 // Ci += Ar*Bi
/*  mfmaIndex:444  */
v_mfma_f32_16x16x4_f32 a[108+0:111+0], v[vgprValuB_X2_I0+24+2+0], v[vgprValuA_X2_I0+12+2+0], a[108:111]
 // Cr += Ar*Br
/*  mfmaIndex:445  */
v_mfma_f32_16x16x4_f32 a[220+0:223+0], v[vgprValuB_X2_I0+24+2+0], v[vgprValuA_X2_I0+12+2+0+1], a[220:223]
 // Ci += Ai*Br
/*  mfmaIndex:446  */
v_mfma_f32_16x16x4_f32 a[108+0:111+0], v[vgprValuB_X2_I0+24+2+0+1], v141, a[108:111]
 // Cr += -Ai*Bi
/*  mfmaIndex:447  */
v_mfma_f32_16x16x4_f32 a[220+0:223+0], v[vgprValuB_X2_I0+24+2+0+1], v[vgprValuA_X2_I0+12+2+0], a[220:223]
 // Ci += Ar*Bi
s_setprio 0                                        // store optimization

label_0014:


/******************************************/
/* Opt. NoLoadLoop Without PAP - Begin                                      */
/******************************************/

s_mov_b32 s82, s[sgprBeta+0]                       // tmp = Beta[0]
s_or_b32 s82, s[sgprBeta+1], s82                   // tmp |= Beta[1] 
s_cmpk_eq_u32 s82, 0x0                             // Beta == 0
s_cbranch_scc0 OptNLL_End_17                       // Branch if Beta is not zero

s_mov_b32 s82, 1.0                                 // Real part of 1.0
s_mov_b32 s83, 0.0                                 // Imaginary part of 1.0
s_cmp_eq_u64 s[sgprAlpha:sgprAlpha+1], s[82:83]    // Alpha == 1.0 ?
s_cbranch_scc0 OptNLL_End_17                       // branch if alpha != 1

s_and_b32 s82, 255, s[sgprSizeI]                   // s82 = s[sgprSizeI] % 256
s_add_u32 s83, -0x1, s[sgprNumWorkGroups0]         // 
s_cmp_ge_u32 s[sgprWorkGroup0], s83                // wg0 >= nwg0-1 ?
s_cselect_b32 s82, s82, 0                          // set rMT0
s_cmpk_gt_u32 s82, 0x0                             // rMT0 > 0
s_cbranch_scc1 OptNLL_End_17                       // jump if edges required
s_mov_b32 s85, 0x0                                 // STATIC_DIV: divisior=112
s_mul_i32 s84, 0x492, s[sgprSizeJ]                 // tmp1 = dividend * magic hi
s_lshl_b64 s[84:85], s[84:85], 0x10                // left shift 16 bits
s_mul_i32 s83, s[sgprSizeJ], 0x4925                // tmp0 = dividend * magic lo
s_add_u32 s84, s83, s84                            // add lo
s_addc_u32 s85, s85, 0x0                           // add hi
s_lshr_b64 s[84:85], s[84:85], 0x21                // tmp1 = (dividend * magic) << shift
s_mov_b32 s83, s84                                 // quotient
s_mul_i32 s84, s83, 0x70                           // quotient*divisor
s_sub_u32 s82, s[sgprSizeJ], s84                   // rReg = dividend - quotient*divisor
s_add_u32 s83, -0x1, s[sgprNumWorkGroups1]         // 
s_cmp_ge_u32 s[sgprWorkGroup1], s83                // wg1 >= nwg1-1
s_cselect_b32 s82, s82, 0                          // set rMT1
s_cmpk_gt_u32 s82, 0x0                             // rMT1 > 0
s_cbranch_scc1 OptNLL_End_17                       // jump if edges required

s_and_b32 s83, 15, s[sgprSizesSum+0]               // s83 = s[sgprSizesSum+0] % 16
s_cmp_eq_u32 s83, 0x0                              // numIterL == 0
s_cbranch_scc0 OptNLL_End_17                       // skip if tail loop required


	;; [unrolled: 1-line block ×3, first 2 shown]
/* iter 0 (last unrolled loop) */

/*  grEndMfmaIndex:0, lwStartMfmaIndex:430, lwEndMfmaIndex:430  */
/*  numMfmaForLR:15, barrierMfmaIndex:432, LocalWritePerMfma:0.055 */
/*  mfmaIndex:0  */
s_waitcnt lgkmcnt(0)                               // lgkmcnt=0 vmcnt=-1wait for prior local read local write old=0, new=0 newLW=0 newLR=0
v_add_f32 v141, -v[vgprValuA_X0_I0+0+0+0+1], 0     // Ai=-Ai
v_mfma_f32_16x16x4_f32 a[0+0:3+0], v[vgprValuB_X0_I0+0+0+0], v[vgprValuA_X0_I0+0+0+0], a[0:3]
 // Cr += Ar*Br
/*  mfmaIndex:1  */
_ds_load_b128 v[vgprValuA_X2_I0+0:vgprValuA_X2_I0+0+3], v[vgprLocalReadAddrA] offset:64 // L -> Reg lro=8 swapByteOffset=0 ti=128 vIdx=0 rIdx=0 oIdx=0 buffer=2 iui=0
v_mfma_f32_16x16x4_f32 a[112+0:115+0], v[vgprValuB_X0_I0+0+0+0], v[vgprValuA_X0_I0+0+0+0+1], a[112:115]
 // Ci += Ai*Br
/*  mfmaIndex:2  */
_ds_load_b128 v[vgprValuB_X2_I0+0:vgprValuB_X2_I0+0+3], v[vgprLocalReadAddrB] offset:64 // L -> Reg lro=8 swapByteOffset=0 ti=16 vIdx=0 rIdx=0 oIdx=0 buffer=2 iui=0
v_mfma_f32_16x16x4_f32 a[0+0:3+0], v[vgprValuB_X0_I0+0+0+0+1], v141, a[0:3]
 // Cr += -Ai*Bi
/*  mfmaIndex:3  */
_ds_load_b128 v[vgprValuA_X2_I0+4:vgprValuA_X2_I0+4+3], v[vgprLocalReadAddrA] offset:192 // L -> Reg lro=8 swapByteOffset=0 ti=128 vIdx=0 rIdx=0 oIdx=0 buffer=2 iui=0
v_mfma_f32_16x16x4_f32 a[112+0:115+0], v[vgprValuB_X0_I0+0+0+0+1], v[vgprValuA_X0_I0+0+0+0], a[112:115]
 // Ci += Ar*Bi
/*  mfmaIndex:4  */
_ds_load_b128 v[vgprValuA_X2_I0+8:vgprValuA_X2_I0+8+3], v[vgprLocalReadAddrA] offset:18496 // L -> Reg lro=8 swapByteOffset=0 ti=128 vIdx=1 rIdx=0 oIdx=0 buffer=2 iui=0
v_mfma_f32_16x16x4_f32 a[16+0:19+0], v[vgprValuB_X0_I0+4+0+0], v[vgprValuA_X0_I0+0+0+0], a[16:19]
 // Cr += Ar*Br
/*  mfmaIndex:5  */
_ds_load_b128 v[vgprValuA_X2_I0+12:vgprValuA_X2_I0+12+3], v[vgprLocalReadAddrA] offset:18624 // L -> Reg lro=8 swapByteOffset=0 ti=128 vIdx=1 rIdx=0 oIdx=0 buffer=2 iui=0
v_mfma_f32_16x16x4_f32 a[128+0:131+0], v[vgprValuB_X0_I0+4+0+0], v[vgprValuA_X0_I0+0+0+0+1], a[128:131]
 // Ci += Ai*Br
/*  mfmaIndex:6  */
_ds_load_b128 v[vgprValuB_X2_I0+4:vgprValuB_X2_I0+4+3], v[vgprLocalReadAddrB] offset:2624 // L -> Reg lro=8 swapByteOffset=0 ti=16 vIdx=1 rIdx=0 oIdx=0 buffer=2 iui=0
v_mfma_f32_16x16x4_f32 a[16+0:19+0], v[vgprValuB_X0_I0+4+0+0+1], v141, a[16:19]
 // Cr += -Ai*Bi
/*  mfmaIndex:7  */
_ds_load_b128 v[vgprValuB_X2_I0+8:vgprValuB_X2_I0+8+3], v[vgprLocalReadAddrB] offset:5184 // L -> Reg lro=8 swapByteOffset=0 ti=16 vIdx=2 rIdx=0 oIdx=0 buffer=2 iui=0
v_mfma_f32_16x16x4_f32 a[128+0:131+0], v[vgprValuB_X0_I0+4+0+0+1], v[vgprValuA_X0_I0+0+0+0], a[128:131]
 // Ci += Ar*Bi
/*  mfmaIndex:8  */
_ds_load_b128 v[vgprValuB_X2_I0+12:vgprValuB_X2_I0+12+3], v[vgprLocalReadAddrB] offset:7744 // L -> Reg lro=8 swapByteOffset=0 ti=16 vIdx=3 rIdx=0 oIdx=0 buffer=2 iui=0
v_mfma_f32_16x16x4_f32 a[32+0:35+0], v[vgprValuB_X0_I0+8+0+0], v[vgprValuA_X0_I0+0+0+0], a[32:35]
 // Cr += Ar*Br
/*  mfmaIndex:9  */
_ds_load_b128 v[vgprValuB_X2_I0+16:vgprValuB_X2_I0+16+3], v[vgprLocalReadAddrB] offset:10304 // L -> Reg lro=8 swapByteOffset=0 ti=16 vIdx=4 rIdx=0 oIdx=0 buffer=2 iui=0
v_mfma_f32_16x16x4_f32 a[144+0:147+0], v[vgprValuB_X0_I0+8+0+0], v[vgprValuA_X0_I0+0+0+0+1], a[144:147]
 // Ci += Ai*Br
/*  mfmaIndex:10  */
_ds_load_b128 v[vgprValuB_X2_I0+20:vgprValuB_X2_I0+20+3], v[vgprLocalReadAddrB] offset:12864 // L -> Reg lro=8 swapByteOffset=0 ti=16 vIdx=5 rIdx=0 oIdx=0 buffer=2 iui=0
v_mfma_f32_16x16x4_f32 a[32+0:35+0], v[vgprValuB_X0_I0+8+0+0+1], v141, a[32:35]
 // Cr += -Ai*Bi
/*  mfmaIndex:11  */
_ds_load_b128 v[vgprValuB_X2_I0+24:vgprValuB_X2_I0+24+3], v[vgprLocalReadAddrB] offset:15424 // L -> Reg lro=8 swapByteOffset=0 ti=16 vIdx=6 rIdx=0 oIdx=0 buffer=2 iui=0
/* localReadsVacancy: latencyLeft 1 */
v_mfma_f32_16x16x4_f32 a[144+0:147+0], v[vgprValuB_X0_I0+8+0+0+1], v[vgprValuA_X0_I0+0+0+0], a[144:147]
 // Ci += Ar*Bi
/*  mfmaIndex:12  */
/* localReadsVacancy: latencyLeft 5 */
v_mfma_f32_16x16x4_f32 a[48+0:51+0], v[vgprValuB_X0_I0+12+0+0], v[vgprValuA_X0_I0+0+0+0], a[48:51]
 // Cr += Ar*Br
/*  mfmaIndex:13  */
/* localReadsVacancy: latencyLeft 5 */
v_mfma_f32_16x16x4_f32 a[160+0:163+0], v[vgprValuB_X0_I0+12+0+0], v[vgprValuA_X0_I0+0+0+0+1], a[160:163]
 // Ci += Ai*Br
/*  mfmaIndex:14  */
/* localReadsVacancy: latencyLeft 5 */
v_mfma_f32_16x16x4_f32 a[48+0:51+0], v[vgprValuB_X0_I0+12+0+0+1], v141, a[48:51]
 // Cr += -Ai*Bi
/*  mfmaIndex:15  */
/* localReadsVacancy: latencyLeft 5 */
v_mfma_f32_16x16x4_f32 a[160+0:163+0], v[vgprValuB_X0_I0+12+0+0+1], v[vgprValuA_X0_I0+0+0+0], a[160:163]
 // Ci += Ar*Bi
/*  mfmaIndex:16  */
/* localReadsVacancy: latencyLeft 5 */
v_mfma_f32_16x16x4_f32 a[64+0:67+0], v[vgprValuB_X0_I0+16+0+0], v[vgprValuA_X0_I0+0+0+0], a[64:67]
 // Cr += Ar*Br
/*  mfmaIndex:17  */
/* localReadsVacancy: latencyLeft 5 */
v_mfma_f32_16x16x4_f32 a[176+0:179+0], v[vgprValuB_X0_I0+16+0+0], v[vgprValuA_X0_I0+0+0+0+1], a[176:179]
 // Ci += Ai*Br
/*  mfmaIndex:18  */
/* localReadsVacancy: latencyLeft 5 */
v_mfma_f32_16x16x4_f32 a[64+0:67+0], v[vgprValuB_X0_I0+16+0+0+1], v141, a[64:67]
 // Cr += -Ai*Bi
/*  mfmaIndex:19  */
	;; [unrolled: 16-line block ×4, first 2 shown]
/* localReadsVacancy: latencyLeft 5 */
v_mfma_f32_16x16x4_f32 a[208+0:211+0], v[vgprValuB_X0_I0+24+0+0+1], v[vgprValuA_X0_I0+0+0+0], a[208:211]
 // Ci += Ar*Bi
/*  mfmaIndex:28  */
/* localReadsVacancy: latencyLeft 5 */
v_add_f32 v141, -v[vgprValuA_X0_I0+4+0+0+1], 0     // Ai=-Ai
v_mfma_f32_16x16x4_f32 a[4+0:7+0], v[vgprValuB_X0_I0+0+0+0], v[vgprValuA_X0_I0+4+0+0], a[4:7]
 // Cr += Ar*Br
/*  mfmaIndex:29  */
/* localReadsVacancy: latencyLeft 5 */
v_mfma_f32_16x16x4_f32 a[116+0:119+0], v[vgprValuB_X0_I0+0+0+0], v[vgprValuA_X0_I0+4+0+0+1], a[116:119]
 // Ci += Ai*Br
/*  mfmaIndex:30  */
/* localReadsVacancy: latencyLeft 5 */
v_mfma_f32_16x16x4_f32 a[4+0:7+0], v[vgprValuB_X0_I0+0+0+0+1], v141, a[4:7]
 // Cr += -Ai*Bi
/*  mfmaIndex:31  */
/* localReadsVacancy: latencyLeft 5 */
v_mfma_f32_16x16x4_f32 a[116+0:119+0], v[vgprValuB_X0_I0+0+0+0+1], v[vgprValuA_X0_I0+4+0+0], a[116:119]
 // Ci += Ar*Bi
/*  mfmaIndex:32  */
/* localReadsVacancy: latencyLeft 5 */
v_mfma_f32_16x16x4_f32 a[20+0:23+0], v[vgprValuB_X0_I0+4+0+0], v[vgprValuA_X0_I0+4+0+0], a[20:23]
 // Cr += Ar*Br
/*  mfmaIndex:33  */
/* localReadsVacancy: latencyLeft 5 */
v_mfma_f32_16x16x4_f32 a[132+0:135+0], v[vgprValuB_X0_I0+4+0+0], v[vgprValuA_X0_I0+4+0+0+1], a[132:135]
 // Ci += Ai*Br
/*  mfmaIndex:34  */
/* localReadsVacancy: latencyLeft 5 */
v_mfma_f32_16x16x4_f32 a[20+0:23+0], v[vgprValuB_X0_I0+4+0+0+1], v141, a[20:23]
 // Cr += -Ai*Bi
/*  mfmaIndex:35  */
/* localReadsVacancy: latencyLeft 5 */
v_mfma_f32_16x16x4_f32 a[132+0:135+0], v[vgprValuB_X0_I0+4+0+0+1], v[vgprValuA_X0_I0+4+0+0], a[132:135]
 // Ci += Ar*Bi
/*  mfmaIndex:36  */
/* localReadsVacancy: latencyLeft 5 */
	;; [unrolled: 16-line block ×7, first 2 shown]
v_add_f32 v141, -v[vgprValuA_X0_I0+8+0+0+1], 0     // Ai=-Ai
v_mfma_f32_16x16x4_f32 a[8+0:11+0], v[vgprValuB_X0_I0+0+0+0], v[vgprValuA_X0_I0+8+0+0], a[8:11]
 // Cr += Ar*Br
/*  mfmaIndex:57  */
/* localReadsVacancy: latencyLeft 5 */
v_mfma_f32_16x16x4_f32 a[120+0:123+0], v[vgprValuB_X0_I0+0+0+0], v[vgprValuA_X0_I0+8+0+0+1], a[120:123]
 // Ci += Ai*Br
/*  mfmaIndex:58  */
/* localReadsVacancy: latencyLeft 5 */
v_mfma_f32_16x16x4_f32 a[8+0:11+0], v[vgprValuB_X0_I0+0+0+0+1], v141, a[8:11]
 // Cr += -Ai*Bi
/*  mfmaIndex:59  */
/* localReadsVacancy: latencyLeft 5 */
v_mfma_f32_16x16x4_f32 a[120+0:123+0], v[vgprValuB_X0_I0+0+0+0+1], v[vgprValuA_X0_I0+8+0+0], a[120:123]
 // Ci += Ar*Bi
/*  mfmaIndex:60  */
/* localReadsVacancy: latencyLeft 5 */
v_mfma_f32_16x16x4_f32 a[24+0:27+0], v[vgprValuB_X0_I0+4+0+0], v[vgprValuA_X0_I0+8+0+0], a[24:27]
 // Cr += Ar*Br
/*  mfmaIndex:61  */
/* localReadsVacancy: latencyLeft 5 */
v_mfma_f32_16x16x4_f32 a[136+0:139+0], v[vgprValuB_X0_I0+4+0+0], v[vgprValuA_X0_I0+8+0+0+1], a[136:139]
 // Ci += Ai*Br
/*  mfmaIndex:62  */
/* localReadsVacancy: latencyLeft 5 */
v_mfma_f32_16x16x4_f32 a[24+0:27+0], v[vgprValuB_X0_I0+4+0+0+1], v141, a[24:27]
 // Cr += -Ai*Bi
/*  mfmaIndex:63  */
/* localReadsVacancy: latencyLeft 5 */
v_mfma_f32_16x16x4_f32 a[136+0:139+0], v[vgprValuB_X0_I0+4+0+0+1], v[vgprValuA_X0_I0+8+0+0], a[136:139]
 // Ci += Ar*Bi
/*  mfmaIndex:64  */
/* localReadsVacancy: latencyLeft 5 */
v_mfma_f32_16x16x4_f32 a[40+0:43+0], v[vgprValuB_X0_I0+8+0+0], v[vgprValuA_X0_I0+8+0+0], a[40:43]
 // Cr += Ar*Br
/*  mfmaIndex:65  */
/* localReadsVacancy: latencyLeft 5 */
v_mfma_f32_16x16x4_f32 a[152+0:155+0], v[vgprValuB_X0_I0+8+0+0], v[vgprValuA_X0_I0+8+0+0+1], a[152:155]
 // Ci += Ai*Br
/*  mfmaIndex:66  */
/* localReadsVacancy: latencyLeft 5 */
v_mfma_f32_16x16x4_f32 a[40+0:43+0], v[vgprValuB_X0_I0+8+0+0+1], v141, a[40:43]
 // Cr += -Ai*Bi
/*  mfmaIndex:67  */
/* localReadsVacancy: latencyLeft 5 */
v_mfma_f32_16x16x4_f32 a[152+0:155+0], v[vgprValuB_X0_I0+8+0+0+1], v[vgprValuA_X0_I0+8+0+0], a[152:155]
 // Ci += Ar*Bi
/*  mfmaIndex:68  */
/* localReadsVacancy: latencyLeft 5 */
v_mfma_f32_16x16x4_f32 a[56+0:59+0], v[vgprValuB_X0_I0+12+0+0], v[vgprValuA_X0_I0+8+0+0], a[56:59]
 // Cr += Ar*Br
/*  mfmaIndex:69  */
/* localReadsVacancy: latencyLeft 5 */
v_mfma_f32_16x16x4_f32 a[168+0:171+0], v[vgprValuB_X0_I0+12+0+0], v[vgprValuA_X0_I0+8+0+0+1], a[168:171]
 // Ci += Ai*Br
/*  mfmaIndex:70  */
/* localReadsVacancy: latencyLeft 5 */
v_mfma_f32_16x16x4_f32 a[56+0:59+0], v[vgprValuB_X0_I0+12+0+0+1], v141, a[56:59]
 // Cr += -Ai*Bi
/*  mfmaIndex:71  */
/* localReadsVacancy: latencyLeft 5 */
v_mfma_f32_16x16x4_f32 a[168+0:171+0], v[vgprValuB_X0_I0+12+0+0+1], v[vgprValuA_X0_I0+8+0+0], a[168:171]
 // Ci += Ar*Bi
/*  mfmaIndex:72  */
/* localReadsVacancy: latencyLeft 5 */
v_mfma_f32_16x16x4_f32 a[72+0:75+0], v[vgprValuB_X0_I0+16+0+0], v[vgprValuA_X0_I0+8+0+0], a[72:75]
 // Cr += Ar*Br
/*  mfmaIndex:73  */
/* localReadsVacancy: latencyLeft 5 */
v_mfma_f32_16x16x4_f32 a[184+0:187+0], v[vgprValuB_X0_I0+16+0+0], v[vgprValuA_X0_I0+8+0+0+1], a[184:187]
 // Ci += Ai*Br
/*  mfmaIndex:74  */
/* localReadsVacancy: latencyLeft 5 */
v_mfma_f32_16x16x4_f32 a[72+0:75+0], v[vgprValuB_X0_I0+16+0+0+1], v141, a[72:75]
 // Cr += -Ai*Bi
/*  mfmaIndex:75  */
/* localReadsVacancy: latencyLeft 5 */
v_mfma_f32_16x16x4_f32 a[184+0:187+0], v[vgprValuB_X0_I0+16+0+0+1], v[vgprValuA_X0_I0+8+0+0], a[184:187]
 // Ci += Ar*Bi
/*  mfmaIndex:76  */
/* localReadsVacancy: latencyLeft 5 */
v_mfma_f32_16x16x4_f32 a[88+0:91+0], v[vgprValuB_X0_I0+20+0+0], v[vgprValuA_X0_I0+8+0+0], a[88:91]
 // Cr += Ar*Br
/*  mfmaIndex:77  */
/* localReadsVacancy: latencyLeft 5 */
v_mfma_f32_16x16x4_f32 a[200+0:203+0], v[vgprValuB_X0_I0+20+0+0], v[vgprValuA_X0_I0+8+0+0+1], a[200:203]
 // Ci += Ai*Br
/*  mfmaIndex:78  */
/* localReadsVacancy: latencyLeft 5 */
v_mfma_f32_16x16x4_f32 a[88+0:91+0], v[vgprValuB_X0_I0+20+0+0+1], v141, a[88:91]
 // Cr += -Ai*Bi
/*  mfmaIndex:79  */
/* localReadsVacancy: latencyLeft 5 */
v_mfma_f32_16x16x4_f32 a[200+0:203+0], v[vgprValuB_X0_I0+20+0+0+1], v[vgprValuA_X0_I0+8+0+0], a[200:203]
 // Ci += Ar*Bi
/*  mfmaIndex:80  */
/* localReadsVacancy: latencyLeft 5 */
v_mfma_f32_16x16x4_f32 a[104+0:107+0], v[vgprValuB_X0_I0+24+0+0], v[vgprValuA_X0_I0+8+0+0], a[104:107]
 // Cr += Ar*Br
/*  mfmaIndex:81  */
/* localReadsVacancy: latencyLeft 5 */
v_mfma_f32_16x16x4_f32 a[216+0:219+0], v[vgprValuB_X0_I0+24+0+0], v[vgprValuA_X0_I0+8+0+0+1], a[216:219]
 // Ci += Ai*Br
/*  mfmaIndex:82  */
/* localReadsVacancy: latencyLeft 5 */
v_mfma_f32_16x16x4_f32 a[104+0:107+0], v[vgprValuB_X0_I0+24+0+0+1], v141, a[104:107]
 // Cr += -Ai*Bi
/*  mfmaIndex:83  */
/* localReadsVacancy: latencyLeft 5 */
v_mfma_f32_16x16x4_f32 a[216+0:219+0], v[vgprValuB_X0_I0+24+0+0+1], v[vgprValuA_X0_I0+8+0+0], a[216:219]
 // Ci += Ar*Bi
/*  mfmaIndex:84  */
/* localReadsVacancy: latencyLeft 5 */
v_add_f32 v141, -v[vgprValuA_X0_I0+12+0+0+1], 0    // Ai=-Ai
v_mfma_f32_16x16x4_f32 a[12+0:15+0], v[vgprValuB_X0_I0+0+0+0], v[vgprValuA_X0_I0+12+0+0], a[12:15]
 // Cr += Ar*Br
/*  mfmaIndex:85  */
/* localReadsVacancy: latencyLeft 5 */
v_mfma_f32_16x16x4_f32 a[124+0:127+0], v[vgprValuB_X0_I0+0+0+0], v[vgprValuA_X0_I0+12+0+0+1], a[124:127]
 // Ci += Ai*Br
/*  mfmaIndex:86  */
/* localReadsVacancy: latencyLeft 5 */
v_mfma_f32_16x16x4_f32 a[12+0:15+0], v[vgprValuB_X0_I0+0+0+0+1], v141, a[12:15]
 // Cr += -Ai*Bi
/*  mfmaIndex:87  */
/* localReadsVacancy: latencyLeft 5 */
v_mfma_f32_16x16x4_f32 a[124+0:127+0], v[vgprValuB_X0_I0+0+0+0+1], v[vgprValuA_X0_I0+12+0+0], a[124:127]
 // Ci += Ar*Bi
/*  mfmaIndex:88  */
/* localReadsVacancy: latencyLeft 5 */
v_mfma_f32_16x16x4_f32 a[28+0:31+0], v[vgprValuB_X0_I0+4+0+0], v[vgprValuA_X0_I0+12+0+0], a[28:31]
 // Cr += Ar*Br
/*  mfmaIndex:89  */
/* localReadsVacancy: latencyLeft 5 */
v_mfma_f32_16x16x4_f32 a[140+0:143+0], v[vgprValuB_X0_I0+4+0+0], v[vgprValuA_X0_I0+12+0+0+1], a[140:143]
 // Ci += Ai*Br
/*  mfmaIndex:90  */
/* localReadsVacancy: latencyLeft 5 */
v_mfma_f32_16x16x4_f32 a[28+0:31+0], v[vgprValuB_X0_I0+4+0+0+1], v141, a[28:31]
 // Cr += -Ai*Bi
/*  mfmaIndex:91  */
/* localReadsVacancy: latencyLeft 5 */
v_mfma_f32_16x16x4_f32 a[140+0:143+0], v[vgprValuB_X0_I0+4+0+0+1], v[vgprValuA_X0_I0+12+0+0], a[140:143]
 // Ci += Ar*Bi
/*  mfmaIndex:92  */
/* localReadsVacancy: latencyLeft 5 */
	;; [unrolled: 16-line block ×6, first 2 shown]
v_mfma_f32_16x16x4_f32 a[108+0:111+0], v[vgprValuB_X0_I0+24+0+0], v[vgprValuA_X0_I0+12+0+0], a[108:111]
 // Cr += Ar*Br
/*  mfmaIndex:109  */
/* localReadsVacancy: latencyLeft 5 */
v_mfma_f32_16x16x4_f32 a[220+0:223+0], v[vgprValuB_X0_I0+24+0+0], v[vgprValuA_X0_I0+12+0+0+1], a[220:223]
 // Ci += Ai*Br
/*  mfmaIndex:110  */
/* localReadsVacancy: latencyLeft 5 */
v_mfma_f32_16x16x4_f32 a[108+0:111+0], v[vgprValuB_X0_I0+24+0+0+1], v141, a[108:111]
 // Cr += -Ai*Bi
/*  mfmaIndex:111  */
/* localReadsVacancy: latencyLeft 5 */
v_mfma_f32_16x16x4_f32 a[220+0:223+0], v[vgprValuB_X0_I0+24+0+0+1], v[vgprValuA_X0_I0+12+0+0], a[220:223]
 // Ci += Ar*Bi
/* numPrefetchIter=0 */
/* dataAtIterA=-1 numReadsIterA=1 skipReadsIterA=1 readsPerIterA=4 */
/* dataAtIterB=-1 numReadsIterB=1 skipReadsIterB=1 readsPerIterB=7 */


/* iter 1 (last unrolled loop) */

/*  grEndMfmaIndex:0, lwStartMfmaIndex:430, lwEndMfmaIndex:430  */
/*  numMfmaForLR:15, barrierMfmaIndex:432, LocalWritePerMfma:0.055 */
/*  mfmaIndex:112  */
/* localReadsVacancy: latencyLeft 5 */
s_waitcnt lgkmcnt(11)                              // lgkmcnt=0 vmcnt=-1wait for prior local read local write old=0, new=11 newLW=0 newLR=11
v_add_f32 v141, -v[vgprValuA_X0_I0+0+2+0+1], 0     // Ai=-Ai
v_mfma_f32_16x16x4_f32 a[0+0:3+0], v[vgprValuB_X0_I0+0+2+0], v[vgprValuA_X0_I0+0+2+0], a[0:3]
 // Cr += Ar*Br
/*  mfmaIndex:113  */
/* localReadsVacancy: latencyLeft 5 */
v_mfma_f32_16x16x4_f32 a[112+0:115+0], v[vgprValuB_X0_I0+0+2+0], v[vgprValuA_X0_I0+0+2+0+1], a[112:115]
 // Ci += Ai*Br
/*  mfmaIndex:114  */
/* localReadsVacancy: latencyLeft 5 */
v_mfma_f32_16x16x4_f32 a[0+0:3+0], v[vgprValuB_X0_I0+0+2+0+1], v141, a[0:3]
 // Cr += -Ai*Bi
/*  mfmaIndex:115  */
/* localReadsVacancy: latencyLeft 5 */
v_mfma_f32_16x16x4_f32 a[112+0:115+0], v[vgprValuB_X0_I0+0+2+0+1], v[vgprValuA_X0_I0+0+2+0], a[112:115]
 // Ci += Ar*Bi
/*  mfmaIndex:116  */
/* localReadsVacancy: latencyLeft 5 */
v_mfma_f32_16x16x4_f32 a[16+0:19+0], v[vgprValuB_X0_I0+4+2+0], v[vgprValuA_X0_I0+0+2+0], a[16:19]
 // Cr += Ar*Br
/*  mfmaIndex:117  */
/* localReadsVacancy: latencyLeft 5 */
v_mfma_f32_16x16x4_f32 a[128+0:131+0], v[vgprValuB_X0_I0+4+2+0], v[vgprValuA_X0_I0+0+2+0+1], a[128:131]
 // Ci += Ai*Br
/*  mfmaIndex:118  */
/* localReadsVacancy: latencyLeft 5 */
v_mfma_f32_16x16x4_f32 a[16+0:19+0], v[vgprValuB_X0_I0+4+2+0+1], v141, a[16:19]
 // Cr += -Ai*Bi
/*  mfmaIndex:119  */
/* localReadsVacancy: latencyLeft 5 */
v_mfma_f32_16x16x4_f32 a[128+0:131+0], v[vgprValuB_X0_I0+4+2+0+1], v[vgprValuA_X0_I0+0+2+0], a[128:131]
 // Ci += Ar*Bi
/*  mfmaIndex:120  */
/* localReadsVacancy: latencyLeft 5 */
	;; [unrolled: 16-line block ×7, first 2 shown]
v_add_f32 v141, -v[vgprValuA_X0_I0+4+2+0+1], 0     // Ai=-Ai
v_mfma_f32_16x16x4_f32 a[4+0:7+0], v[vgprValuB_X0_I0+0+2+0], v[vgprValuA_X0_I0+4+2+0], a[4:7]
 // Cr += Ar*Br
/*  mfmaIndex:141  */
/* localReadsVacancy: latencyLeft 5 */
v_mfma_f32_16x16x4_f32 a[116+0:119+0], v[vgprValuB_X0_I0+0+2+0], v[vgprValuA_X0_I0+4+2+0+1], a[116:119]
 // Ci += Ai*Br
/*  mfmaIndex:142  */
/* localReadsVacancy: latencyLeft 5 */
v_mfma_f32_16x16x4_f32 a[4+0:7+0], v[vgprValuB_X0_I0+0+2+0+1], v141, a[4:7]
 // Cr += -Ai*Bi
/*  mfmaIndex:143  */
/* localReadsVacancy: latencyLeft 5 */
v_mfma_f32_16x16x4_f32 a[116+0:119+0], v[vgprValuB_X0_I0+0+2+0+1], v[vgprValuA_X0_I0+4+2+0], a[116:119]
 // Ci += Ar*Bi
/*  mfmaIndex:144  */
/* localReadsVacancy: latencyLeft 5 */
v_mfma_f32_16x16x4_f32 a[20+0:23+0], v[vgprValuB_X0_I0+4+2+0], v[vgprValuA_X0_I0+4+2+0], a[20:23]
 // Cr += Ar*Br
/*  mfmaIndex:145  */
/* localReadsVacancy: latencyLeft 5 */
v_mfma_f32_16x16x4_f32 a[132+0:135+0], v[vgprValuB_X0_I0+4+2+0], v[vgprValuA_X0_I0+4+2+0+1], a[132:135]
 // Ci += Ai*Br
/*  mfmaIndex:146  */
/* localReadsVacancy: latencyLeft 5 */
v_mfma_f32_16x16x4_f32 a[20+0:23+0], v[vgprValuB_X0_I0+4+2+0+1], v141, a[20:23]
 // Cr += -Ai*Bi
/*  mfmaIndex:147  */
/* localReadsVacancy: latencyLeft 5 */
v_mfma_f32_16x16x4_f32 a[132+0:135+0], v[vgprValuB_X0_I0+4+2+0+1], v[vgprValuA_X0_I0+4+2+0], a[132:135]
 // Ci += Ar*Bi
/*  mfmaIndex:148  */
/* localReadsVacancy: latencyLeft 5 */
	;; [unrolled: 16-line block ×7, first 2 shown]
v_add_f32 v141, -v[vgprValuA_X0_I0+8+2+0+1], 0     // Ai=-Ai
v_mfma_f32_16x16x4_f32 a[8+0:11+0], v[vgprValuB_X0_I0+0+2+0], v[vgprValuA_X0_I0+8+2+0], a[8:11]
 // Cr += Ar*Br
/*  mfmaIndex:169  */
/* localReadsVacancy: latencyLeft 5 */
v_mfma_f32_16x16x4_f32 a[120+0:123+0], v[vgprValuB_X0_I0+0+2+0], v[vgprValuA_X0_I0+8+2+0+1], a[120:123]
 // Ci += Ai*Br
/*  mfmaIndex:170  */
/* localReadsVacancy: latencyLeft 5 */
v_mfma_f32_16x16x4_f32 a[8+0:11+0], v[vgprValuB_X0_I0+0+2+0+1], v141, a[8:11]
 // Cr += -Ai*Bi
/*  mfmaIndex:171  */
/* localReadsVacancy: latencyLeft 5 */
v_mfma_f32_16x16x4_f32 a[120+0:123+0], v[vgprValuB_X0_I0+0+2+0+1], v[vgprValuA_X0_I0+8+2+0], a[120:123]
 // Ci += Ar*Bi
/*  mfmaIndex:172  */
/* localReadsVacancy: latencyLeft 5 */
v_mfma_f32_16x16x4_f32 a[24+0:27+0], v[vgprValuB_X0_I0+4+2+0], v[vgprValuA_X0_I0+8+2+0], a[24:27]
 // Cr += Ar*Br
/*  mfmaIndex:173  */
/* localReadsVacancy: latencyLeft 5 */
v_mfma_f32_16x16x4_f32 a[136+0:139+0], v[vgprValuB_X0_I0+4+2+0], v[vgprValuA_X0_I0+8+2+0+1], a[136:139]
 // Ci += Ai*Br
/*  mfmaIndex:174  */
/* localReadsVacancy: latencyLeft 5 */
v_mfma_f32_16x16x4_f32 a[24+0:27+0], v[vgprValuB_X0_I0+4+2+0+1], v141, a[24:27]
 // Cr += -Ai*Bi
/*  mfmaIndex:175  */
/* localReadsVacancy: latencyLeft 5 */
v_mfma_f32_16x16x4_f32 a[136+0:139+0], v[vgprValuB_X0_I0+4+2+0+1], v[vgprValuA_X0_I0+8+2+0], a[136:139]
 // Ci += Ar*Bi
/*  mfmaIndex:176  */
/* localReadsVacancy: latencyLeft 5 */
	;; [unrolled: 16-line block ×7, first 2 shown]
v_add_f32 v141, -v[vgprValuA_X0_I0+12+2+0+1], 0    // Ai=-Ai
v_mfma_f32_16x16x4_f32 a[12+0:15+0], v[vgprValuB_X0_I0+0+2+0], v[vgprValuA_X0_I0+12+2+0], a[12:15]
 // Cr += Ar*Br
/*  mfmaIndex:197  */
/* localReadsVacancy: latencyLeft 5 */
v_mfma_f32_16x16x4_f32 a[124+0:127+0], v[vgprValuB_X0_I0+0+2+0], v[vgprValuA_X0_I0+12+2+0+1], a[124:127]
 // Ci += Ai*Br
/*  mfmaIndex:198  */
/* localReadsVacancy: latencyLeft 5 */
v_mfma_f32_16x16x4_f32 a[12+0:15+0], v[vgprValuB_X0_I0+0+2+0+1], v141, a[12:15]
 // Cr += -Ai*Bi
/*  mfmaIndex:199  */
/* localReadsVacancy: latencyLeft 5 */
v_mfma_f32_16x16x4_f32 a[124+0:127+0], v[vgprValuB_X0_I0+0+2+0+1], v[vgprValuA_X0_I0+12+2+0], a[124:127]
 // Ci += Ar*Bi
/*  mfmaIndex:200  */
/* localReadsVacancy: latencyLeft 5 */
v_mfma_f32_16x16x4_f32 a[28+0:31+0], v[vgprValuB_X0_I0+4+2+0], v[vgprValuA_X0_I0+12+2+0], a[28:31]
 // Cr += Ar*Br
/*  mfmaIndex:201  */
/* localReadsVacancy: latencyLeft 5 */
v_mfma_f32_16x16x4_f32 a[140+0:143+0], v[vgprValuB_X0_I0+4+2+0], v[vgprValuA_X0_I0+12+2+0+1], a[140:143]
 // Ci += Ai*Br
/*  mfmaIndex:202  */
/* localReadsVacancy: latencyLeft 5 */
v_mfma_f32_16x16x4_f32 a[28+0:31+0], v[vgprValuB_X0_I0+4+2+0+1], v141, a[28:31]
 // Cr += -Ai*Bi
/*  mfmaIndex:203  */
/* localReadsVacancy: latencyLeft 5 */
v_mfma_f32_16x16x4_f32 a[140+0:143+0], v[vgprValuB_X0_I0+4+2+0+1], v[vgprValuA_X0_I0+12+2+0], a[140:143]
 // Ci += Ar*Bi
/*  mfmaIndex:204  */
/* localReadsVacancy: latencyLeft 5 */
	;; [unrolled: 16-line block ×6, first 2 shown]
v_mfma_f32_16x16x4_f32 a[108+0:111+0], v[vgprValuB_X0_I0+24+2+0], v[vgprValuA_X0_I0+12+2+0], a[108:111]
 // Cr += Ar*Br
/*  mfmaIndex:221  */
/* localReadsVacancy: latencyLeft 5 */
v_mfma_f32_16x16x4_f32 a[220+0:223+0], v[vgprValuB_X0_I0+24+2+0], v[vgprValuA_X0_I0+12+2+0+1], a[220:223]
 // Ci += Ai*Br
/*  mfmaIndex:222  */
/* localReadsVacancy: latencyLeft 5 */
v_mfma_f32_16x16x4_f32 a[108+0:111+0], v[vgprValuB_X0_I0+24+2+0+1], v141, a[108:111]
 // Cr += -Ai*Bi
/*  mfmaIndex:223  */
/* localReadsVacancy: latencyLeft 5 */
v_mfma_f32_16x16x4_f32 a[220+0:223+0], v[vgprValuB_X0_I0+24+2+0+1], v[vgprValuA_X0_I0+12+2+0], a[220:223]
 // Ci += Ar*Bi
/* numPrefetchIter=0 */
/* dataAtIterA=-1 numReadsIterA=1 skipReadsIterA=1 readsPerIterA=4 */
/* dataAtIterB=-1 numReadsIterB=1 skipReadsIterB=1 readsPerIterB=7 */


/* iter 2 (last unrolled loop) */

/*  grEndMfmaIndex:0, lwStartMfmaIndex:430, lwEndMfmaIndex:430  */
/*  numMfmaForLR:15, barrierMfmaIndex:432, LocalWritePerMfma:0.055 */
/*  mfmaIndex:224  */
/* localReadsVacancy: latencyLeft 5 */
s_waitcnt lgkmcnt(0)                               // lgkmcnt=0 vmcnt=-1wait for prior local read local write old=0, new=0 newLW=0 newLR=0
v_add_f32 v141, -v[vgprValuA_X2_I0+0+0+0+1], 0     // Ai=-Ai
v_mfma_f32_16x16x4_f32 a[0+0:3+0], v[vgprValuB_X2_I0+0+0+0], v[vgprValuA_X2_I0+0+0+0], a[0:3]
 // Cr += Ar*Br
/*  mfmaIndex:225  */
/* localReadsVacancy: latencyLeft 5 */
v_mfma_f32_16x16x4_f32 a[112+0:115+0], v[vgprValuB_X2_I0+0+0+0], v[vgprValuA_X2_I0+0+0+0+1], a[112:115]
 // Ci += Ai*Br
/*  mfmaIndex:226  */
/* localReadsVacancy: latencyLeft 5 */
v_mfma_f32_16x16x4_f32 a[0+0:3+0], v[vgprValuB_X2_I0+0+0+0+1], v141, a[0:3]
 // Cr += -Ai*Bi
/*  mfmaIndex:227  */
/* localReadsVacancy: latencyLeft 5 */
v_mfma_f32_16x16x4_f32 a[112+0:115+0], v[vgprValuB_X2_I0+0+0+0+1], v[vgprValuA_X2_I0+0+0+0], a[112:115]
 // Ci += Ar*Bi
/*  mfmaIndex:228  */
/* localReadsVacancy: latencyLeft 5 */
v_mfma_f32_16x16x4_f32 a[16+0:19+0], v[vgprValuB_X2_I0+4+0+0], v[vgprValuA_X2_I0+0+0+0], a[16:19]
 // Cr += Ar*Br
/*  mfmaIndex:229  */
/* localReadsVacancy: latencyLeft 5 */
v_mfma_f32_16x16x4_f32 a[128+0:131+0], v[vgprValuB_X2_I0+4+0+0], v[vgprValuA_X2_I0+0+0+0+1], a[128:131]
 // Ci += Ai*Br
/*  mfmaIndex:230  */
/* localReadsVacancy: latencyLeft 5 */
v_mfma_f32_16x16x4_f32 a[16+0:19+0], v[vgprValuB_X2_I0+4+0+0+1], v141, a[16:19]
 // Cr += -Ai*Bi
/*  mfmaIndex:231  */
/* localReadsVacancy: latencyLeft 5 */
v_mfma_f32_16x16x4_f32 a[128+0:131+0], v[vgprValuB_X2_I0+4+0+0+1], v[vgprValuA_X2_I0+0+0+0], a[128:131]
 // Ci += Ar*Bi
/*  mfmaIndex:232  */
/* localReadsVacancy: latencyLeft 5 */
	;; [unrolled: 16-line block ×7, first 2 shown]
v_add_f32 v141, -v[vgprValuA_X2_I0+4+0+0+1], 0     // Ai=-Ai
v_mfma_f32_16x16x4_f32 a[4+0:7+0], v[vgprValuB_X2_I0+0+0+0], v[vgprValuA_X2_I0+4+0+0], a[4:7]
 // Cr += Ar*Br
/*  mfmaIndex:253  */
/* localReadsVacancy: latencyLeft 5 */
v_mfma_f32_16x16x4_f32 a[116+0:119+0], v[vgprValuB_X2_I0+0+0+0], v[vgprValuA_X2_I0+4+0+0+1], a[116:119]
 // Ci += Ai*Br
/*  mfmaIndex:254  */
/* localReadsVacancy: latencyLeft 5 */
v_mfma_f32_16x16x4_f32 a[4+0:7+0], v[vgprValuB_X2_I0+0+0+0+1], v141, a[4:7]
 // Cr += -Ai*Bi
/*  mfmaIndex:255  */
/* localReadsVacancy: latencyLeft 5 */
v_mfma_f32_16x16x4_f32 a[116+0:119+0], v[vgprValuB_X2_I0+0+0+0+1], v[vgprValuA_X2_I0+4+0+0], a[116:119]
 // Ci += Ar*Bi
/*  mfmaIndex:256  */
/* localReadsVacancy: latencyLeft 5 */
v_mfma_f32_16x16x4_f32 a[20+0:23+0], v[vgprValuB_X2_I0+4+0+0], v[vgprValuA_X2_I0+4+0+0], a[20:23]
 // Cr += Ar*Br
/*  mfmaIndex:257  */
/* localReadsVacancy: latencyLeft 5 */
v_mfma_f32_16x16x4_f32 a[132+0:135+0], v[vgprValuB_X2_I0+4+0+0], v[vgprValuA_X2_I0+4+0+0+1], a[132:135]
 // Ci += Ai*Br
/*  mfmaIndex:258  */
/* localReadsVacancy: latencyLeft 5 */
v_mfma_f32_16x16x4_f32 a[20+0:23+0], v[vgprValuB_X2_I0+4+0+0+1], v141, a[20:23]
 // Cr += -Ai*Bi
/*  mfmaIndex:259  */
/* localReadsVacancy: latencyLeft 5 */
v_mfma_f32_16x16x4_f32 a[132+0:135+0], v[vgprValuB_X2_I0+4+0+0+1], v[vgprValuA_X2_I0+4+0+0], a[132:135]
 // Ci += Ar*Bi
/*  mfmaIndex:260  */
/* localReadsVacancy: latencyLeft 5 */
	;; [unrolled: 16-line block ×7, first 2 shown]
v_add_f32 v141, -v[vgprValuA_X2_I0+8+0+0+1], 0     // Ai=-Ai
v_mfma_f32_16x16x4_f32 a[8+0:11+0], v[vgprValuB_X2_I0+0+0+0], v[vgprValuA_X2_I0+8+0+0], a[8:11]
 // Cr += Ar*Br
/*  mfmaIndex:281  */
/* localReadsVacancy: latencyLeft 5 */
v_mfma_f32_16x16x4_f32 a[120+0:123+0], v[vgprValuB_X2_I0+0+0+0], v[vgprValuA_X2_I0+8+0+0+1], a[120:123]
 // Ci += Ai*Br
/*  mfmaIndex:282  */
/* localReadsVacancy: latencyLeft 5 */
v_mfma_f32_16x16x4_f32 a[8+0:11+0], v[vgprValuB_X2_I0+0+0+0+1], v141, a[8:11]
 // Cr += -Ai*Bi
/*  mfmaIndex:283  */
/* localReadsVacancy: latencyLeft 5 */
v_mfma_f32_16x16x4_f32 a[120+0:123+0], v[vgprValuB_X2_I0+0+0+0+1], v[vgprValuA_X2_I0+8+0+0], a[120:123]
 // Ci += Ar*Bi
/*  mfmaIndex:284  */
/* localReadsVacancy: latencyLeft 5 */
v_mfma_f32_16x16x4_f32 a[24+0:27+0], v[vgprValuB_X2_I0+4+0+0], v[vgprValuA_X2_I0+8+0+0], a[24:27]
 // Cr += Ar*Br
/*  mfmaIndex:285  */
/* localReadsVacancy: latencyLeft 5 */
v_mfma_f32_16x16x4_f32 a[136+0:139+0], v[vgprValuB_X2_I0+4+0+0], v[vgprValuA_X2_I0+8+0+0+1], a[136:139]
 // Ci += Ai*Br
/*  mfmaIndex:286  */
/* localReadsVacancy: latencyLeft 5 */
v_mfma_f32_16x16x4_f32 a[24+0:27+0], v[vgprValuB_X2_I0+4+0+0+1], v141, a[24:27]
 // Cr += -Ai*Bi
/*  mfmaIndex:287  */
/* localReadsVacancy: latencyLeft 5 */
v_mfma_f32_16x16x4_f32 a[136+0:139+0], v[vgprValuB_X2_I0+4+0+0+1], v[vgprValuA_X2_I0+8+0+0], a[136:139]
 // Ci += Ar*Bi
/*  mfmaIndex:288  */
/* localReadsVacancy: latencyLeft 5 */
v_mfma_f32_16x16x4_f32 a[40+0:43+0], v[vgprValuB_X2_I0+8+0+0], v[vgprValuA_X2_I0+8+0+0], a[40:43]
 // Cr += Ar*Br
/*  mfmaIndex:289  */
/* localReadsVacancy: latencyLeft 5 */
v_mfma_f32_16x16x4_f32 a[152+0:155+0], v[vgprValuB_X2_I0+8+0+0], v[vgprValuA_X2_I0+8+0+0+1], a[152:155]
 // Ci += Ai*Br
/*  mfmaIndex:290  */
/* localReadsVacancy: latencyLeft 5 */
v_mfma_f32_16x16x4_f32 a[40+0:43+0], v[vgprValuB_X2_I0+8+0+0+1], v141, a[40:43]
 // Cr += -Ai*Bi
/*  mfmaIndex:291  */
/* localReadsVacancy: latencyLeft 5 */
v_mfma_f32_16x16x4_f32 a[152+0:155+0], v[vgprValuB_X2_I0+8+0+0+1], v[vgprValuA_X2_I0+8+0+0], a[152:155]
 // Ci += Ar*Bi
/*  mfmaIndex:292  */
/* localReadsVacancy: latencyLeft 5 */
v_mfma_f32_16x16x4_f32 a[56+0:59+0], v[vgprValuB_X2_I0+12+0+0], v[vgprValuA_X2_I0+8+0+0], a[56:59]
 // Cr += Ar*Br
/*  mfmaIndex:293  */
/* localReadsVacancy: latencyLeft 5 */
v_mfma_f32_16x16x4_f32 a[168+0:171+0], v[vgprValuB_X2_I0+12+0+0], v[vgprValuA_X2_I0+8+0+0+1], a[168:171]
 // Ci += Ai*Br
/*  mfmaIndex:294  */
/* localReadsVacancy: latencyLeft 5 */
v_mfma_f32_16x16x4_f32 a[56+0:59+0], v[vgprValuB_X2_I0+12+0+0+1], v141, a[56:59]
 // Cr += -Ai*Bi
/*  mfmaIndex:295  */
/* localReadsVacancy: latencyLeft 5 */
v_mfma_f32_16x16x4_f32 a[168+0:171+0], v[vgprValuB_X2_I0+12+0+0+1], v[vgprValuA_X2_I0+8+0+0], a[168:171]
 // Ci += Ar*Bi
/*  mfmaIndex:296  */
/* localReadsVacancy: latencyLeft 5 */
v_mfma_f32_16x16x4_f32 a[72+0:75+0], v[vgprValuB_X2_I0+16+0+0], v[vgprValuA_X2_I0+8+0+0], a[72:75]
 // Cr += Ar*Br
/*  mfmaIndex:297  */
/* localReadsVacancy: latencyLeft 5 */
v_mfma_f32_16x16x4_f32 a[184+0:187+0], v[vgprValuB_X2_I0+16+0+0], v[vgprValuA_X2_I0+8+0+0+1], a[184:187]
 // Ci += Ai*Br
/*  mfmaIndex:298  */
/* localReadsVacancy: latencyLeft 5 */
v_mfma_f32_16x16x4_f32 a[72+0:75+0], v[vgprValuB_X2_I0+16+0+0+1], v141, a[72:75]
 // Cr += -Ai*Bi
/*  mfmaIndex:299  */
/* localReadsVacancy: latencyLeft 5 */
v_mfma_f32_16x16x4_f32 a[184+0:187+0], v[vgprValuB_X2_I0+16+0+0+1], v[vgprValuA_X2_I0+8+0+0], a[184:187]
 // Ci += Ar*Bi
/*  mfmaIndex:300  */
/* localReadsVacancy: latencyLeft 5 */
v_mfma_f32_16x16x4_f32 a[88+0:91+0], v[vgprValuB_X2_I0+20+0+0], v[vgprValuA_X2_I0+8+0+0], a[88:91]
 // Cr += Ar*Br
/*  mfmaIndex:301  */
/* localReadsVacancy: latencyLeft 5 */
v_mfma_f32_16x16x4_f32 a[200+0:203+0], v[vgprValuB_X2_I0+20+0+0], v[vgprValuA_X2_I0+8+0+0+1], a[200:203]
 // Ci += Ai*Br
/*  mfmaIndex:302  */
/* localReadsVacancy: latencyLeft 5 */
v_mfma_f32_16x16x4_f32 a[88+0:91+0], v[vgprValuB_X2_I0+20+0+0+1], v141, a[88:91]
 // Cr += -Ai*Bi
/*  mfmaIndex:303  */
/* localReadsVacancy: latencyLeft 5 */
v_mfma_f32_16x16x4_f32 a[200+0:203+0], v[vgprValuB_X2_I0+20+0+0+1], v[vgprValuA_X2_I0+8+0+0], a[200:203]
 // Ci += Ar*Bi
/*  mfmaIndex:304  */
/* localReadsVacancy: latencyLeft 5 */
v_mfma_f32_16x16x4_f32 a[104+0:107+0], v[vgprValuB_X2_I0+24+0+0], v[vgprValuA_X2_I0+8+0+0], a[104:107]
 // Cr += Ar*Br
/*  mfmaIndex:305  */
/* localReadsVacancy: latencyLeft 5 */
v_mfma_f32_16x16x4_f32 a[216+0:219+0], v[vgprValuB_X2_I0+24+0+0], v[vgprValuA_X2_I0+8+0+0+1], a[216:219]
 // Ci += Ai*Br
/*  mfmaIndex:306  */
/* localReadsVacancy: latencyLeft 5 */
v_mfma_f32_16x16x4_f32 a[104+0:107+0], v[vgprValuB_X2_I0+24+0+0+1], v141, a[104:107]
 // Cr += -Ai*Bi
/*  mfmaIndex:307  */
/* localReadsVacancy: latencyLeft 5 */
v_mfma_f32_16x16x4_f32 a[216+0:219+0], v[vgprValuB_X2_I0+24+0+0+1], v[vgprValuA_X2_I0+8+0+0], a[216:219]
 // Ci += Ar*Bi
/*  mfmaIndex:308  */
/* localReadsVacancy: latencyLeft 5 */
v_add_f32 v141, -v[vgprValuA_X2_I0+12+0+0+1], 0    // Ai=-Ai
v_mfma_f32_16x16x4_f32 a[12+0:15+0], v[vgprValuB_X2_I0+0+0+0], v[vgprValuA_X2_I0+12+0+0], a[12:15]
 // Cr += Ar*Br
/*  mfmaIndex:309  */
/* localReadsVacancy: latencyLeft 5 */
v_mfma_f32_16x16x4_f32 a[124+0:127+0], v[vgprValuB_X2_I0+0+0+0], v[vgprValuA_X2_I0+12+0+0+1], a[124:127]
 // Ci += Ai*Br
/*  mfmaIndex:310  */
/* localReadsVacancy: latencyLeft 5 */
v_mfma_f32_16x16x4_f32 a[12+0:15+0], v[vgprValuB_X2_I0+0+0+0+1], v141, a[12:15]
 // Cr += -Ai*Bi
/*  mfmaIndex:311  */
/* localReadsVacancy: latencyLeft 5 */
v_mfma_f32_16x16x4_f32 a[124+0:127+0], v[vgprValuB_X2_I0+0+0+0+1], v[vgprValuA_X2_I0+12+0+0], a[124:127]
 // Ci += Ar*Bi
/*  mfmaIndex:312  */
/* localReadsVacancy: latencyLeft 5 */
v_mfma_f32_16x16x4_f32 a[28+0:31+0], v[vgprValuB_X2_I0+4+0+0], v[vgprValuA_X2_I0+12+0+0], a[28:31]
 // Cr += Ar*Br
/*  mfmaIndex:313  */
/* localReadsVacancy: latencyLeft 5 */
v_mfma_f32_16x16x4_f32 a[140+0:143+0], v[vgprValuB_X2_I0+4+0+0], v[vgprValuA_X2_I0+12+0+0+1], a[140:143]
 // Ci += Ai*Br
/*  mfmaIndex:314  */
/* localReadsVacancy: latencyLeft 5 */
v_mfma_f32_16x16x4_f32 a[28+0:31+0], v[vgprValuB_X2_I0+4+0+0+1], v141, a[28:31]
 // Cr += -Ai*Bi
/*  mfmaIndex:315  */
/* localReadsVacancy: latencyLeft 5 */
v_mfma_f32_16x16x4_f32 a[140+0:143+0], v[vgprValuB_X2_I0+4+0+0+1], v[vgprValuA_X2_I0+12+0+0], a[140:143]
 // Ci += Ar*Bi
/*  mfmaIndex:316  */
/* localReadsVacancy: latencyLeft 5 */
	;; [unrolled: 16-line block ×6, first 2 shown]
v_mfma_f32_16x16x4_f32 a[108+0:111+0], v[vgprValuB_X2_I0+24+0+0], v[vgprValuA_X2_I0+12+0+0], a[108:111]
 // Cr += Ar*Br
/*  mfmaIndex:333  */
/* localReadsVacancy: latencyLeft 5 */
v_mfma_f32_16x16x4_f32 a[220+0:223+0], v[vgprValuB_X2_I0+24+0+0], v[vgprValuA_X2_I0+12+0+0+1], a[220:223]
 // Ci += Ai*Br
/*  mfmaIndex:334  */
/* localReadsVacancy: latencyLeft 5 */
v_mfma_f32_16x16x4_f32 a[108+0:111+0], v[vgprValuB_X2_I0+24+0+0+1], v141, a[108:111]
 // Cr += -Ai*Bi
/*  mfmaIndex:335  */
/* localReadsVacancy: latencyLeft 5 */
v_mfma_f32_16x16x4_f32 a[220+0:223+0], v[vgprValuB_X2_I0+24+0+0+1], v[vgprValuA_X2_I0+12+0+0], a[220:223]
 // Ci += Ar*Bi
/* numPrefetchIter=0 */
/* dataAtIterA=0 numReadsIterA=1 skipReadsIterA=0 readsPerIterA=4 */
/* dataAtIterB=0 numReadsIterB=1 skipReadsIterB=0 readsPerIterB=7 */


/* iter 3 (last unrolled loop) */

/*  grEndMfmaIndex:0, lwStartMfmaIndex:430, lwEndMfmaIndex:430  */
/*  numMfmaForLR:15, barrierMfmaIndex:432, LocalWritePerMfma:0.055 */
/*  mfmaIndex:336  */
s_waitcnt lgkmcnt(0)                               // lgkmcnt=0 vmcnt=-1wait for prior local read local write old=0, new=0 newLW=0 newLR=0
v_add_f32 v141, -v[vgprValuA_X2_I0+0+2+0+1], 0     // Ai=-Ai
v_mfma_f32_16x16x4_f32 a[0+0:3+0], v[vgprValuB_X2_I0+0+2+0], v[vgprValuA_X2_I0+0+2+0], a[0:3]
 // Cr += Ar*Br
/*  mfmaIndex:337  */
v_mfma_f32_16x16x4_f32 a[112+0:115+0], v[vgprValuB_X2_I0+0+2+0], v[vgprValuA_X2_I0+0+2+0+1], a[112:115]
 // Ci += Ai*Br
/*  mfmaIndex:338  */
v_mfma_f32_16x16x4_f32 a[0+0:3+0], v[vgprValuB_X2_I0+0+2+0+1], v141, a[0:3]
 // Cr += -Ai*Bi
/*  mfmaIndex:339  */
v_mfma_f32_16x16x4_f32 a[112+0:115+0], v[vgprValuB_X2_I0+0+2+0+1], v[vgprValuA_X2_I0+0+2+0], a[112:115]
 // Ci += Ar*Bi
/*  mfmaIndex:340  */
v_mfma_f32_16x16x4_f32 a[16+0:19+0], v[vgprValuB_X2_I0+4+2+0], v[vgprValuA_X2_I0+0+2+0], a[16:19]
 // Cr += Ar*Br
/*  mfmaIndex:341  */
v_mfma_f32_16x16x4_f32 a[128+0:131+0], v[vgprValuB_X2_I0+4+2+0], v[vgprValuA_X2_I0+0+2+0+1], a[128:131]
 // Ci += Ai*Br
/*  mfmaIndex:342  */
v_mfma_f32_16x16x4_f32 a[16+0:19+0], v[vgprValuB_X2_I0+4+2+0+1], v141, a[16:19]
 // Cr += -Ai*Bi
/*  mfmaIndex:343  */
v_mfma_f32_16x16x4_f32 a[128+0:131+0], v[vgprValuB_X2_I0+4+2+0+1], v[vgprValuA_X2_I0+0+2+0], a[128:131]
 // Ci += Ar*Bi
/*  mfmaIndex:344  */
	;; [unrolled: 12-line block ×7, first 2 shown]
v_add_f32 v141, -v[vgprValuA_X2_I0+4+2+0+1], 0     // Ai=-Ai
v_mfma_f32_16x16x4_f32 a[4+0:7+0], v[vgprValuB_X2_I0+0+2+0], v[vgprValuA_X2_I0+4+2+0], a[4:7]
 // Cr += Ar*Br
/*  mfmaIndex:365  */
v_mfma_f32_16x16x4_f32 a[116+0:119+0], v[vgprValuB_X2_I0+0+2+0], v[vgprValuA_X2_I0+4+2+0+1], a[116:119]
 // Ci += Ai*Br
/*  mfmaIndex:366  */
v_mfma_f32_16x16x4_f32 a[4+0:7+0], v[vgprValuB_X2_I0+0+2+0+1], v141, a[4:7]
 // Cr += -Ai*Bi
/*  mfmaIndex:367  */
v_mfma_f32_16x16x4_f32 a[116+0:119+0], v[vgprValuB_X2_I0+0+2+0+1], v[vgprValuA_X2_I0+4+2+0], a[116:119]
 // Ci += Ar*Bi
/*  mfmaIndex:368  */
v_mfma_f32_16x16x4_f32 a[20+0:23+0], v[vgprValuB_X2_I0+4+2+0], v[vgprValuA_X2_I0+4+2+0], a[20:23]
 // Cr += Ar*Br
/*  mfmaIndex:369  */
v_mfma_f32_16x16x4_f32 a[132+0:135+0], v[vgprValuB_X2_I0+4+2+0], v[vgprValuA_X2_I0+4+2+0+1], a[132:135]
 // Ci += Ai*Br
/*  mfmaIndex:370  */
v_mfma_f32_16x16x4_f32 a[20+0:23+0], v[vgprValuB_X2_I0+4+2+0+1], v141, a[20:23]
 // Cr += -Ai*Bi
/*  mfmaIndex:371  */
v_mfma_f32_16x16x4_f32 a[132+0:135+0], v[vgprValuB_X2_I0+4+2+0+1], v[vgprValuA_X2_I0+4+2+0], a[132:135]
 // Ci += Ar*Bi
/*  mfmaIndex:372  */
	;; [unrolled: 12-line block ×7, first 2 shown]
v_add_f32 v141, -v[vgprValuA_X2_I0+8+2+0+1], 0     // Ai=-Ai
v_mfma_f32_16x16x4_f32 a[8+0:11+0], v[vgprValuB_X2_I0+0+2+0], v[vgprValuA_X2_I0+8+2+0], a[8:11]
 // Cr += Ar*Br
/*  mfmaIndex:393  */
v_mfma_f32_16x16x4_f32 a[120+0:123+0], v[vgprValuB_X2_I0+0+2+0], v[vgprValuA_X2_I0+8+2+0+1], a[120:123]
 // Ci += Ai*Br
/*  mfmaIndex:394  */
v_mfma_f32_16x16x4_f32 a[8+0:11+0], v[vgprValuB_X2_I0+0+2+0+1], v141, a[8:11]
 // Cr += -Ai*Bi
/*  mfmaIndex:395  */
v_mfma_f32_16x16x4_f32 a[120+0:123+0], v[vgprValuB_X2_I0+0+2+0+1], v[vgprValuA_X2_I0+8+2+0], a[120:123]
 // Ci += Ar*Bi
/*  mfmaIndex:396  */
v_mfma_f32_16x16x4_f32 a[24+0:27+0], v[vgprValuB_X2_I0+4+2+0], v[vgprValuA_X2_I0+8+2+0], a[24:27]
 // Cr += Ar*Br
/*  mfmaIndex:397  */
v_mfma_f32_16x16x4_f32 a[136+0:139+0], v[vgprValuB_X2_I0+4+2+0], v[vgprValuA_X2_I0+8+2+0+1], a[136:139]
 // Ci += Ai*Br
/*  mfmaIndex:398  */
v_mfma_f32_16x16x4_f32 a[24+0:27+0], v[vgprValuB_X2_I0+4+2+0+1], v141, a[24:27]
 // Cr += -Ai*Bi
/*  mfmaIndex:399  */
v_mfma_f32_16x16x4_f32 a[136+0:139+0], v[vgprValuB_X2_I0+4+2+0+1], v[vgprValuA_X2_I0+8+2+0], a[136:139]
 // Ci += Ar*Bi
/*  mfmaIndex:400  */
	;; [unrolled: 12-line block ×7, first 2 shown]
v_add_f32 v141, -v[vgprValuA_X2_I0+12+2+0+1], 0    // Ai=-Ai
v_mfma_f32_16x16x4_f32 a[12+0:15+0], v[vgprValuB_X2_I0+0+2+0], v[vgprValuA_X2_I0+12+2+0], a[12:15]
 // Cr += Ar*Br
/*  mfmaIndex:421  */
v_mfma_f32_16x16x4_f32 a[124+0:127+0], v[vgprValuB_X2_I0+0+2+0], v[vgprValuA_X2_I0+12+2+0+1], a[124:127]
 // Ci += Ai*Br
/*  mfmaIndex:422  */
v_mfma_f32_16x16x4_f32 a[12+0:15+0], v[vgprValuB_X2_I0+0+2+0+1], v141, a[12:15]
 // Cr += -Ai*Bi
/*  mfmaIndex:423  */
v_mfma_f32_16x16x4_f32 a[124+0:127+0], v[vgprValuB_X2_I0+0+2+0+1], v[vgprValuA_X2_I0+12+2+0], a[124:127]
 // Ci += Ar*Bi
/*  mfmaIndex:424  */
v_mfma_f32_16x16x4_f32 a[28+0:31+0], v[vgprValuB_X2_I0+4+2+0], v[vgprValuA_X2_I0+12+2+0], a[28:31]
 // Cr += Ar*Br
/*  mfmaIndex:425  */
v_mfma_f32_16x16x4_f32 a[140+0:143+0], v[vgprValuB_X2_I0+4+2+0], v[vgprValuA_X2_I0+12+2+0+1], a[140:143]
 // Ci += Ai*Br
/*  mfmaIndex:426  */
v_mfma_f32_16x16x4_f32 a[28+0:31+0], v[vgprValuB_X2_I0+4+2+0+1], v141, a[28:31]
 // Cr += -Ai*Bi
/*  mfmaIndex:427  */
v_mfma_f32_16x16x4_f32 a[140+0:143+0], v[vgprValuB_X2_I0+4+2+0+1], v[vgprValuA_X2_I0+12+2+0], a[140:143]
 // Ci += Ar*Bi
/*  mfmaIndex:428  */
v_mfma_f32_16x16x4_f32 a[44+0:47+0], v[vgprValuB_X2_I0+8+2+0], v[vgprValuA_X2_I0+12+2+0], a[44:47]
 // Cr += Ar*Br
/*  mfmaIndex:429  */
/* 1 LDS buffer: read-sync-write */
s_waitcnt lgkmcnt(0)                               // 
s_barrier                                          // 
v_mfma_f32_16x16x4_f32 a[156+0:159+0], v[vgprValuB_X2_I0+8+2+0], v[vgprValuA_X2_I0+12+2+0+1], a[156:159]
 // Ci += Ai*Br
/*  mfmaIndex:430  */
s_setprio 3                                        // store optimization
v_mfma_f32_16x16x4_f32 a[44+0:47+0], v[vgprValuB_X2_I0+8+2+0+1], v141, a[44:47]
 // Cr += -Ai*Bi
/*  mfmaIndex:431  */
v_mfma_f32_16x16x4_f32 a[156+0:159+0], v[vgprValuB_X2_I0+8+2+0+1], v[vgprValuA_X2_I0+12+2+0], a[156:159]
 // Ci += Ar*Bi
s_setprio 0                                        // store optimization
/*  mfmaIndex:432  */
v_mfma_f32_16x16x4_f32 a[60+0:63+0], v[vgprValuB_X2_I0+12+2+0], v[vgprValuA_X2_I0+12+2+0], a[60:63]
 // Cr += Ar*Br
/*  mfmaIndex:433  */
s_setprio 3                                        // store optimization
v_mfma_f32_16x16x4_f32 a[172+0:175+0], v[vgprValuB_X2_I0+12+2+0], v[vgprValuA_X2_I0+12+2+0+1], a[172:175]
 // Ci += Ai*Br
/*  mfmaIndex:434  */
v_mfma_f32_16x16x4_f32 a[60+0:63+0], v[vgprValuB_X2_I0+12+2+0+1], v141, a[60:63]
 // Cr += -Ai*Bi
/*  mfmaIndex:435  */
v_mfma_f32_16x16x4_f32 a[172+0:175+0], v[vgprValuB_X2_I0+12+2+0+1], v[vgprValuA_X2_I0+12+2+0], a[172:175]
 // Ci += Ar*Bi
/*  mfmaIndex:436  */
v_mfma_f32_16x16x4_f32 a[76+0:79+0], v[vgprValuB_X2_I0+16+2+0], v[vgprValuA_X2_I0+12+2+0], a[76:79]
 // Cr += Ar*Br
/*  mfmaIndex:437  */
v_mfma_f32_16x16x4_f32 a[188+0:191+0], v[vgprValuB_X2_I0+16+2+0], v[vgprValuA_X2_I0+12+2+0+1], a[188:191]
 // Ci += Ai*Br
/*  mfmaIndex:438  */
v_mfma_f32_16x16x4_f32 a[76+0:79+0], v[vgprValuB_X2_I0+16+2+0+1], v141, a[76:79]
 // Cr += -Ai*Bi
/*  mfmaIndex:439  */
v_mfma_f32_16x16x4_f32 a[188+0:191+0], v[vgprValuB_X2_I0+16+2+0+1], v[vgprValuA_X2_I0+12+2+0], a[188:191]
 // Ci += Ar*Bi
/*  mfmaIndex:440  */
v_mfma_f32_16x16x4_f32 a[92+0:95+0], v[vgprValuB_X2_I0+20+2+0], v[vgprValuA_X2_I0+12+2+0], a[92:95]
 // Cr += Ar*Br
/*  mfmaIndex:441  */
	;; [unrolled: 12-line block ×3, first 2 shown]
v_mfma_f32_16x16x4_f32 a[220+0:223+0], v[vgprValuB_X2_I0+24+2+0], v[vgprValuA_X2_I0+12+2+0+1], a[220:223]
 // Ci += Ai*Br
/*  mfmaIndex:446  */
v_mfma_f32_16x16x4_f32 a[108+0:111+0], v[vgprValuB_X2_I0+24+2+0+1], v141, a[108:111]
 // Cr += -Ai*Bi
/*  mfmaIndex:447  */
v_mfma_f32_16x16x4_f32 a[220+0:223+0], v[vgprValuB_X2_I0+24+2+0+1], v[vgprValuA_X2_I0+12+2+0], a[220:223]
 // Ci += Ar*Bi
/* numPrefetchIter=0 */
/* dataAtIterA=0 numReadsIterA=1 skipReadsIterA=0 readsPerIterA=4 */
/* dataAtIterB=0 numReadsIterB=1 skipReadsIterB=0 readsPerIterB=7 */

/* Stores for OptNLL */
Summation_End_OptNLL_18:
s_setprio 0                                        // optimization store
/* endSummation: add vgpr [0...138) to pool */
.set NumFullBlocks, UNDEF
.set WgmRemainder1, UNDEF
.set MagicNumberWgmRemainder1, UNDEF
.set ScalarGlobalReadOffsetA, UNDEF
.set ScalarGlobalReadOffsetB, UNDEF

/* Mapping of Acc register -> C Vgpr register */
/* computeStoreVgprs */
v_lshrrev_b32 v4, 6, v[vgprSerial]                 // v4 = v[vgprSerial] / 64
v_and_b32 v1, 63, v[vgprSerial]                    // v1 = v[vgprSerial] % 64
v_lshrrev_b32 v1, 4, v1                            // v1 = v1 / 16
v_lshlrev_b32 v1, 0x2, v1                          // thread0 * continuous_output
v_lshrrev_b32 v5, 2, v4                            // v5 = v4 / 4
v_mul_lo_u32 v5, 0x10, v5                          // wave coordination offset 1
_v_add_lshl_u32 v1, v5, v1, 0                      // coordination 1 = vwb *(wave_id1 + tid1)
v_mul_lo_u32 v2, v1, s[sgprStrideC1J]              //  offset 1
v_mul_lo_u32 v3, v1, s[sgprStrideD1J]              //  offset 1
v_and_b32 v5, 3, v4                                // v5 = v4 % 4
v_mul_lo_u32 v5, 0x10, v5                          // wave coordination offset 0
v_and_b32 v0, 15, v[vgprSerial]                    // v0 = v[vgprSerial] % 16
_v_add_lshl_u32 v0, v5, v0, 1                      // coordination 0 = vwa *(wave_id0 + tid0)
s_mul_i32 s55, 256, s[sgprWorkGroup0]              // wgp0 * MT0
_v_add_u32 v0, s55, v0                             // coord 0 = (tid0/MI_m)*4 + waveG0*MIB_m + MT0*SG0
s_mul_i32 s55, 112, s[sgprWorkGroup1]              // wgp1 * MT1
_v_add_u32 v1, s55, v1                             // coord 1 = (tid0%MI_m) + waveG1*MIB_n + MT1*SG1
GW_B0_E0_21:

/* edge=0, allocate 2 sgpr. perBatchTmpS=2 perBatchMaskS=0 perElementMaskS=0 elementsPerBatch=4 */
/* optSingleColVgpr=1 optSharedColVgpr=0 optSGPRUsage=BufferLoad_Mask optSrdIncForRow=1 */
s_sleep 3 // optimization: sync and wait
s_barrier

/******************************************/
/* Global Write Batch #0 (d1,d0,vc1,vc0) = */
/*    (0,0,0,0:vw2); (0,1,0,0:vw2); (0,0,1,0:vw2); (0,1,1,0:vw2) */
/******************************************/

/* calc coords, apply mask, and issue loads (if necessary) */
/* (d1,vc1,d0,vc0)=(0,0,0,0) */
/* (d1,vc1,d0,vc0)=(0,0,1,0) */
	;; [unrolled: 1-line block ×4, first 2 shown]
_v_add_lshl_u32 v6, v3, v0, 0x3                    // optSingleColVgpr scaleToBpe: sharedAddrVgpr <- cinRowPtr + coord0, scaled by BPE. BSHERE:coord0=0, coord0Vgpr=0
v_accvgpr_read_b32 v[vgprValuC+8], acc0 // copy acc to vreg[0]
v_accvgpr_read_b32 v[vgprValuC+9], acc112 // copy acc to vreg[1]
v_accvgpr_read_b32 v[vgprValuC+10], acc4 // copy acc to vreg[2]
v_accvgpr_read_b32 v[vgprValuC+11], acc116 // copy acc to vreg[3]
v_accvgpr_read_b32 v[vgprValuC+12], acc8 // copy acc to vreg[4]
v_accvgpr_read_b32 v[vgprValuC+13], acc120 // copy acc to vreg[5]
v_accvgpr_read_b32 v[vgprValuC+14], acc12 // copy acc to vreg[6]
v_accvgpr_read_b32 v[vgprValuC+15], acc124 // copy acc to vreg[7]
v_accvgpr_read_b32 v[vgprValuC+16], acc1 // copy acc to vreg[8]
v_accvgpr_read_b32 v[vgprValuC+17], acc113 // copy acc to vreg[9]
v_accvgpr_read_b32 v[vgprValuC+18], acc5 // copy acc to vreg[10]
v_accvgpr_read_b32 v[vgprValuC+19], acc117 // copy acc to vreg[11]
v_accvgpr_read_b32 v[vgprValuC+20], acc9 // copy acc to vreg[12]
v_accvgpr_read_b32 v[vgprValuC+21], acc121 // copy acc to vreg[13]
v_accvgpr_read_b32 v[vgprValuC+22], acc13 // copy acc to vreg[14]
v_accvgpr_read_b32 v[vgprValuC+23], acc125 // copy acc to vreg[15]
s_nop 1                                            // 2 wait states required before reading vgpr

/* apply mask, calc new C and issue writes */
_buffer_store_b128 v[8:11], v6, s[sgprSrdD:sgprSrdD+3], 0, offen, offset:0,  nt // store D
_buffer_store_b128 v[12:15], v6, s[sgprSrdD:sgprSrdD+3], 0, offen, offset:1024,  nt // store D
s_lshl_b32  s56, s[sgprStrideD1J], 3               // incToNextRow: Scale by BPE
s_add_u32  s[sgprSrdD+0], s[sgprSrdD+0], s56       // incToNextRow: gra SRD += inc(lower)
s_addc_u32  s[sgprSrdD+1], s[sgprSrdD+1], 0        // incToNextRow: gra SRD += inc(upper)
_buffer_store_b128 v[16:19], v6, s[sgprSrdD:sgprSrdD+3], 0, offen, offset:0,  nt // store D
_buffer_store_b128 v[20:23], v6, s[sgprSrdD:sgprSrdD+3], 0, offen, offset:1024,  nt // store D
s_nop 0                                            // 1 wait state required when next inst writes vgprs held by previous dwordx4 store inst
/* optSingleColVgpr=1 optSharedColVgpr=0 optSGPRUsage=BufferLoad_Mask optSrdIncForRow=1 */
s_sleep 3 // optimization: sync and wait
s_barrier

/******************************************/
/* Global Write Batch #1 (d1,d0,vc1,vc0) = */
/*    (0,0,2,0:vw2); (0,1,2,0:vw2); (0,0,3,0:vw2); (0,1,3,0:vw2) */
/******************************************/

/* calc coords, apply mask, and issue loads (if necessary) */
/* (d1,vc1,d0,vc0)=(0,2,0,0) */
/* (d1,vc1,d0,vc0)=(0,2,1,0) */
	;; [unrolled: 1-line block ×4, first 2 shown]
v_accvgpr_read_b32 v[vgprValuC+8], acc2 // copy acc to vreg[16]
v_accvgpr_read_b32 v[vgprValuC+9], acc114 // copy acc to vreg[17]
v_accvgpr_read_b32 v[vgprValuC+10], acc6 // copy acc to vreg[18]
v_accvgpr_read_b32 v[vgprValuC+11], acc118 // copy acc to vreg[19]
v_accvgpr_read_b32 v[vgprValuC+12], acc10 // copy acc to vreg[20]
v_accvgpr_read_b32 v[vgprValuC+13], acc122 // copy acc to vreg[21]
v_accvgpr_read_b32 v[vgprValuC+14], acc14 // copy acc to vreg[22]
v_accvgpr_read_b32 v[vgprValuC+15], acc126 // copy acc to vreg[23]
v_accvgpr_read_b32 v[vgprValuC+16], acc3 // copy acc to vreg[24]
v_accvgpr_read_b32 v[vgprValuC+17], acc115 // copy acc to vreg[25]
v_accvgpr_read_b32 v[vgprValuC+18], acc7 // copy acc to vreg[26]
v_accvgpr_read_b32 v[vgprValuC+19], acc119 // copy acc to vreg[27]
v_accvgpr_read_b32 v[vgprValuC+20], acc11 // copy acc to vreg[28]
v_accvgpr_read_b32 v[vgprValuC+21], acc123 // copy acc to vreg[29]
v_accvgpr_read_b32 v[vgprValuC+22], acc15 // copy acc to vreg[30]
v_accvgpr_read_b32 v[vgprValuC+23], acc127 // copy acc to vreg[31]
s_nop 1                                            // 2 wait states required before reading vgpr

/* apply mask, calc new C and issue writes */
s_lshl_b32  s56, s[sgprStrideD1J], 3               // incToNextRow: Scale by BPE
s_add_u32  s[sgprSrdD+0], s[sgprSrdD+0], s56       // incToNextRow: gra SRD += inc(lower)
s_addc_u32  s[sgprSrdD+1], s[sgprSrdD+1], 0        // incToNextRow: gra SRD += inc(upper)
_buffer_store_b128 v[8:11], v6, s[sgprSrdD:sgprSrdD+3], 0, offen, offset:0,  nt // store D
_buffer_store_b128 v[12:15], v6, s[sgprSrdD:sgprSrdD+3], 0, offen, offset:1024,  nt // store D
s_lshl_b32  s56, s[sgprStrideD1J], 3               // incToNextRow: Scale by BPE
s_add_u32  s[sgprSrdD+0], s[sgprSrdD+0], s56       // incToNextRow: gra SRD += inc(lower)
s_addc_u32  s[sgprSrdD+1], s[sgprSrdD+1], 0        // incToNextRow: gra SRD += inc(upper)
_buffer_store_b128 v[16:19], v6, s[sgprSrdD:sgprSrdD+3], 0, offen, offset:0,  nt // store D
_buffer_store_b128 v[20:23], v6, s[sgprSrdD:sgprSrdD+3], 0, offen, offset:1024,  nt // store D
s_nop 0                                            // 1 wait state required when next inst writes vgprs held by previous dwordx4 store inst
/* optSingleColVgpr=1 optSharedColVgpr=0 optSGPRUsage=BufferLoad_Mask optSrdIncForRow=1 */
s_sleep 3 // optimization: sync and wait
s_barrier

/******************************************/
/* Global Write Batch #2 (d1,d0,vc1,vc0) = */
/*    (1,0,0,0:vw2); (1,1,0,0:vw2); (1,0,1,0:vw2); (1,1,1,0:vw2) */
/******************************************/

/* calc coords, apply mask, and issue loads (if necessary) */
/* (d1,vc1,d0,vc0)=(1,0,0,0) */
/* (d1,vc1,d0,vc0)=(1,0,1,0) */
	;; [unrolled: 1-line block ×4, first 2 shown]
v_accvgpr_read_b32 v[vgprValuC+8], acc16 // copy acc to vreg[32]
v_accvgpr_read_b32 v[vgprValuC+9], acc128 // copy acc to vreg[33]
v_accvgpr_read_b32 v[vgprValuC+10], acc20 // copy acc to vreg[34]
v_accvgpr_read_b32 v[vgprValuC+11], acc132 // copy acc to vreg[35]
v_accvgpr_read_b32 v[vgprValuC+12], acc24 // copy acc to vreg[36]
v_accvgpr_read_b32 v[vgprValuC+13], acc136 // copy acc to vreg[37]
v_accvgpr_read_b32 v[vgprValuC+14], acc28 // copy acc to vreg[38]
v_accvgpr_read_b32 v[vgprValuC+15], acc140 // copy acc to vreg[39]
v_accvgpr_read_b32 v[vgprValuC+16], acc17 // copy acc to vreg[40]
v_accvgpr_read_b32 v[vgprValuC+17], acc129 // copy acc to vreg[41]
v_accvgpr_read_b32 v[vgprValuC+18], acc21 // copy acc to vreg[42]
v_accvgpr_read_b32 v[vgprValuC+19], acc133 // copy acc to vreg[43]
v_accvgpr_read_b32 v[vgprValuC+20], acc25 // copy acc to vreg[44]
v_accvgpr_read_b32 v[vgprValuC+21], acc137 // copy acc to vreg[45]
v_accvgpr_read_b32 v[vgprValuC+22], acc29 // copy acc to vreg[46]
v_accvgpr_read_b32 v[vgprValuC+23], acc141 // copy acc to vreg[47]
s_nop 1                                            // 2 wait states required before reading vgpr

/* apply mask, calc new C and issue writes */
s_mul_i32 s56, s[sgprStrideD1J], 104               // scale StrideD *= numRows(13) * bpe
s_add_u32  s[sgprSrdD+0], s[sgprSrdD+0], s56       // incToNextRow: gra SRD += inc(lower)
s_addc_u32  s[sgprSrdD+1], s[sgprSrdD+1], 0        // incToNextRow: gra SRD += inc(upper)
_buffer_store_b128 v[8:11], v6, s[sgprSrdD:sgprSrdD+3], 0, offen, offset:0,  nt // store D
_buffer_store_b128 v[12:15], v6, s[sgprSrdD:sgprSrdD+3], 0, offen, offset:1024,  nt // store D
s_lshl_b32  s56, s[sgprStrideD1J], 3               // incToNextRow: Scale by BPE
s_add_u32  s[sgprSrdD+0], s[sgprSrdD+0], s56       // incToNextRow: gra SRD += inc(lower)
s_addc_u32  s[sgprSrdD+1], s[sgprSrdD+1], 0        // incToNextRow: gra SRD += inc(upper)
_buffer_store_b128 v[16:19], v6, s[sgprSrdD:sgprSrdD+3], 0, offen, offset:0,  nt // store D
_buffer_store_b128 v[20:23], v6, s[sgprSrdD:sgprSrdD+3], 0, offen, offset:1024,  nt // store D
s_nop 0                                            // 1 wait state required when next inst writes vgprs held by previous dwordx4 store inst
/* optSingleColVgpr=1 optSharedColVgpr=0 optSGPRUsage=BufferLoad_Mask optSrdIncForRow=1 */
s_sleep 3 // optimization: sync and wait
s_barrier

/******************************************/
/* Global Write Batch #3 (d1,d0,vc1,vc0) = */
/*    (1,0,2,0:vw2); (1,1,2,0:vw2); (1,0,3,0:vw2); (1,1,3,0:vw2) */
/******************************************/

/* calc coords, apply mask, and issue loads (if necessary) */
/* (d1,vc1,d0,vc0)=(1,2,0,0) */
/* (d1,vc1,d0,vc0)=(1,2,1,0) */
	;; [unrolled: 1-line block ×4, first 2 shown]
v_accvgpr_read_b32 v[vgprValuC+8], acc18 // copy acc to vreg[48]
v_accvgpr_read_b32 v[vgprValuC+9], acc130 // copy acc to vreg[49]
v_accvgpr_read_b32 v[vgprValuC+10], acc22 // copy acc to vreg[50]
v_accvgpr_read_b32 v[vgprValuC+11], acc134 // copy acc to vreg[51]
v_accvgpr_read_b32 v[vgprValuC+12], acc26 // copy acc to vreg[52]
v_accvgpr_read_b32 v[vgprValuC+13], acc138 // copy acc to vreg[53]
v_accvgpr_read_b32 v[vgprValuC+14], acc30 // copy acc to vreg[54]
v_accvgpr_read_b32 v[vgprValuC+15], acc142 // copy acc to vreg[55]
v_accvgpr_read_b32 v[vgprValuC+16], acc19 // copy acc to vreg[56]
v_accvgpr_read_b32 v[vgprValuC+17], acc131 // copy acc to vreg[57]
v_accvgpr_read_b32 v[vgprValuC+18], acc23 // copy acc to vreg[58]
v_accvgpr_read_b32 v[vgprValuC+19], acc135 // copy acc to vreg[59]
v_accvgpr_read_b32 v[vgprValuC+20], acc27 // copy acc to vreg[60]
v_accvgpr_read_b32 v[vgprValuC+21], acc139 // copy acc to vreg[61]
v_accvgpr_read_b32 v[vgprValuC+22], acc31 // copy acc to vreg[62]
v_accvgpr_read_b32 v[vgprValuC+23], acc143 // copy acc to vreg[63]
s_nop 1                                            // 2 wait states required before reading vgpr

/* apply mask, calc new C and issue writes */
s_lshl_b32  s56, s[sgprStrideD1J], 3               // incToNextRow: Scale by BPE
s_add_u32  s[sgprSrdD+0], s[sgprSrdD+0], s56       // incToNextRow: gra SRD += inc(lower)
s_addc_u32  s[sgprSrdD+1], s[sgprSrdD+1], 0        // incToNextRow: gra SRD += inc(upper)
_buffer_store_b128 v[8:11], v6, s[sgprSrdD:sgprSrdD+3], 0, offen, offset:0,  nt // store D
_buffer_store_b128 v[12:15], v6, s[sgprSrdD:sgprSrdD+3], 0, offen, offset:1024,  nt // store D
s_lshl_b32  s56, s[sgprStrideD1J], 3               // incToNextRow: Scale by BPE
s_add_u32  s[sgprSrdD+0], s[sgprSrdD+0], s56       // incToNextRow: gra SRD += inc(lower)
s_addc_u32  s[sgprSrdD+1], s[sgprSrdD+1], 0        // incToNextRow: gra SRD += inc(upper)
_buffer_store_b128 v[16:19], v6, s[sgprSrdD:sgprSrdD+3], 0, offen, offset:0,  nt // store D
_buffer_store_b128 v[20:23], v6, s[sgprSrdD:sgprSrdD+3], 0, offen, offset:1024,  nt // store D
s_nop 0                                            // 1 wait state required when next inst writes vgprs held by previous dwordx4 store inst
/* optSingleColVgpr=1 optSharedColVgpr=0 optSGPRUsage=BufferLoad_Mask optSrdIncForRow=1 */
s_sleep 3 // optimization: sync and wait
s_barrier

/******************************************/
/* Global Write Batch #4 (d1,d0,vc1,vc0) = */
/*    (2,0,0,0:vw2); (2,1,0,0:vw2); (2,0,1,0:vw2); (2,1,1,0:vw2) */
/******************************************/

/* calc coords, apply mask, and issue loads (if necessary) */
/* (d1,vc1,d0,vc0)=(2,0,0,0) */
/* (d1,vc1,d0,vc0)=(2,0,1,0) */
	;; [unrolled: 1-line block ×4, first 2 shown]
v_accvgpr_read_b32 v[vgprValuC+8], acc32 // copy acc to vreg[64]
v_accvgpr_read_b32 v[vgprValuC+9], acc144 // copy acc to vreg[65]
v_accvgpr_read_b32 v[vgprValuC+10], acc36 // copy acc to vreg[66]
v_accvgpr_read_b32 v[vgprValuC+11], acc148 // copy acc to vreg[67]
v_accvgpr_read_b32 v[vgprValuC+12], acc40 // copy acc to vreg[68]
v_accvgpr_read_b32 v[vgprValuC+13], acc152 // copy acc to vreg[69]
v_accvgpr_read_b32 v[vgprValuC+14], acc44 // copy acc to vreg[70]
v_accvgpr_read_b32 v[vgprValuC+15], acc156 // copy acc to vreg[71]
v_accvgpr_read_b32 v[vgprValuC+16], acc33 // copy acc to vreg[72]
v_accvgpr_read_b32 v[vgprValuC+17], acc145 // copy acc to vreg[73]
v_accvgpr_read_b32 v[vgprValuC+18], acc37 // copy acc to vreg[74]
v_accvgpr_read_b32 v[vgprValuC+19], acc149 // copy acc to vreg[75]
v_accvgpr_read_b32 v[vgprValuC+20], acc41 // copy acc to vreg[76]
v_accvgpr_read_b32 v[vgprValuC+21], acc153 // copy acc to vreg[77]
v_accvgpr_read_b32 v[vgprValuC+22], acc45 // copy acc to vreg[78]
v_accvgpr_read_b32 v[vgprValuC+23], acc157 // copy acc to vreg[79]
s_nop 1                                            // 2 wait states required before reading vgpr

/* apply mask, calc new C and issue writes */
s_mul_i32 s56, s[sgprStrideD1J], 104               // scale StrideD *= numRows(13) * bpe
s_add_u32  s[sgprSrdD+0], s[sgprSrdD+0], s56       // incToNextRow: gra SRD += inc(lower)
s_addc_u32  s[sgprSrdD+1], s[sgprSrdD+1], 0        // incToNextRow: gra SRD += inc(upper)
_buffer_store_b128 v[8:11], v6, s[sgprSrdD:sgprSrdD+3], 0, offen, offset:0,  nt // store D
_buffer_store_b128 v[12:15], v6, s[sgprSrdD:sgprSrdD+3], 0, offen, offset:1024,  nt // store D
s_lshl_b32  s56, s[sgprStrideD1J], 3               // incToNextRow: Scale by BPE
s_add_u32  s[sgprSrdD+0], s[sgprSrdD+0], s56       // incToNextRow: gra SRD += inc(lower)
s_addc_u32  s[sgprSrdD+1], s[sgprSrdD+1], 0        // incToNextRow: gra SRD += inc(upper)
_buffer_store_b128 v[16:19], v6, s[sgprSrdD:sgprSrdD+3], 0, offen, offset:0,  nt // store D
_buffer_store_b128 v[20:23], v6, s[sgprSrdD:sgprSrdD+3], 0, offen, offset:1024,  nt // store D
s_nop 0                                            // 1 wait state required when next inst writes vgprs held by previous dwordx4 store inst
/* optSingleColVgpr=1 optSharedColVgpr=0 optSGPRUsage=BufferLoad_Mask optSrdIncForRow=1 */
s_sleep 3 // optimization: sync and wait
s_barrier

/******************************************/
/* Global Write Batch #5 (d1,d0,vc1,vc0) = */
/*    (2,0,2,0:vw2); (2,1,2,0:vw2); (2,0,3,0:vw2); (2,1,3,0:vw2) */
/******************************************/

/* calc coords, apply mask, and issue loads (if necessary) */
/* (d1,vc1,d0,vc0)=(2,2,0,0) */
/* (d1,vc1,d0,vc0)=(2,2,1,0) */
	;; [unrolled: 1-line block ×4, first 2 shown]
v_accvgpr_read_b32 v[vgprValuC+8], acc34 // copy acc to vreg[80]
v_accvgpr_read_b32 v[vgprValuC+9], acc146 // copy acc to vreg[81]
v_accvgpr_read_b32 v[vgprValuC+10], acc38 // copy acc to vreg[82]
v_accvgpr_read_b32 v[vgprValuC+11], acc150 // copy acc to vreg[83]
v_accvgpr_read_b32 v[vgprValuC+12], acc42 // copy acc to vreg[84]
v_accvgpr_read_b32 v[vgprValuC+13], acc154 // copy acc to vreg[85]
v_accvgpr_read_b32 v[vgprValuC+14], acc46 // copy acc to vreg[86]
v_accvgpr_read_b32 v[vgprValuC+15], acc158 // copy acc to vreg[87]
v_accvgpr_read_b32 v[vgprValuC+16], acc35 // copy acc to vreg[88]
v_accvgpr_read_b32 v[vgprValuC+17], acc147 // copy acc to vreg[89]
v_accvgpr_read_b32 v[vgprValuC+18], acc39 // copy acc to vreg[90]
v_accvgpr_read_b32 v[vgprValuC+19], acc151 // copy acc to vreg[91]
v_accvgpr_read_b32 v[vgprValuC+20], acc43 // copy acc to vreg[92]
v_accvgpr_read_b32 v[vgprValuC+21], acc155 // copy acc to vreg[93]
v_accvgpr_read_b32 v[vgprValuC+22], acc47 // copy acc to vreg[94]
v_accvgpr_read_b32 v[vgprValuC+23], acc159 // copy acc to vreg[95]
s_nop 1                                            // 2 wait states required before reading vgpr

/* apply mask, calc new C and issue writes */
s_lshl_b32  s56, s[sgprStrideD1J], 3               // incToNextRow: Scale by BPE
s_add_u32  s[sgprSrdD+0], s[sgprSrdD+0], s56       // incToNextRow: gra SRD += inc(lower)
s_addc_u32  s[sgprSrdD+1], s[sgprSrdD+1], 0        // incToNextRow: gra SRD += inc(upper)
_buffer_store_b128 v[8:11], v6, s[sgprSrdD:sgprSrdD+3], 0, offen, offset:0,  nt // store D
_buffer_store_b128 v[12:15], v6, s[sgprSrdD:sgprSrdD+3], 0, offen, offset:1024,  nt // store D
s_lshl_b32  s56, s[sgprStrideD1J], 3               // incToNextRow: Scale by BPE
s_add_u32  s[sgprSrdD+0], s[sgprSrdD+0], s56       // incToNextRow: gra SRD += inc(lower)
s_addc_u32  s[sgprSrdD+1], s[sgprSrdD+1], 0        // incToNextRow: gra SRD += inc(upper)
_buffer_store_b128 v[16:19], v6, s[sgprSrdD:sgprSrdD+3], 0, offen, offset:0,  nt // store D
_buffer_store_b128 v[20:23], v6, s[sgprSrdD:sgprSrdD+3], 0, offen, offset:1024,  nt // store D
s_nop 0                                            // 1 wait state required when next inst writes vgprs held by previous dwordx4 store inst
/* optSingleColVgpr=1 optSharedColVgpr=0 optSGPRUsage=BufferLoad_Mask optSrdIncForRow=1 */
s_sleep 3 // optimization: sync and wait
s_barrier

/******************************************/
/* Global Write Batch #6 (d1,d0,vc1,vc0) = */
/*    (3,0,0,0:vw2); (3,1,0,0:vw2); (3,0,1,0:vw2); (3,1,1,0:vw2) */
/******************************************/

/* calc coords, apply mask, and issue loads (if necessary) */
/* (d1,vc1,d0,vc0)=(3,0,0,0) */
/* (d1,vc1,d0,vc0)=(3,0,1,0) */
/* (d1,vc1,d0,vc0)=(3,1,0,0) */
/* (d1,vc1,d0,vc0)=(3,1,1,0) */
v_accvgpr_read_b32 v[vgprValuC+8], acc48 // copy acc to vreg[96]
v_accvgpr_read_b32 v[vgprValuC+9], acc160 // copy acc to vreg[97]
v_accvgpr_read_b32 v[vgprValuC+10], acc52 // copy acc to vreg[98]
v_accvgpr_read_b32 v[vgprValuC+11], acc164 // copy acc to vreg[99]
v_accvgpr_read_b32 v[vgprValuC+12], acc56 // copy acc to vreg[100]
v_accvgpr_read_b32 v[vgprValuC+13], acc168 // copy acc to vreg[101]
v_accvgpr_read_b32 v[vgprValuC+14], acc60 // copy acc to vreg[102]
v_accvgpr_read_b32 v[vgprValuC+15], acc172 // copy acc to vreg[103]
v_accvgpr_read_b32 v[vgprValuC+16], acc49 // copy acc to vreg[104]
v_accvgpr_read_b32 v[vgprValuC+17], acc161 // copy acc to vreg[105]
v_accvgpr_read_b32 v[vgprValuC+18], acc53 // copy acc to vreg[106]
v_accvgpr_read_b32 v[vgprValuC+19], acc165 // copy acc to vreg[107]
v_accvgpr_read_b32 v[vgprValuC+20], acc57 // copy acc to vreg[108]
v_accvgpr_read_b32 v[vgprValuC+21], acc169 // copy acc to vreg[109]
v_accvgpr_read_b32 v[vgprValuC+22], acc61 // copy acc to vreg[110]
v_accvgpr_read_b32 v[vgprValuC+23], acc173 // copy acc to vreg[111]
s_nop 1                                            // 2 wait states required before reading vgpr

/* apply mask, calc new C and issue writes */
s_mul_i32 s56, s[sgprStrideD1J], 104               // scale StrideD *= numRows(13) * bpe
s_add_u32  s[sgprSrdD+0], s[sgprSrdD+0], s56       // incToNextRow: gra SRD += inc(lower)
s_addc_u32  s[sgprSrdD+1], s[sgprSrdD+1], 0        // incToNextRow: gra SRD += inc(upper)
_buffer_store_b128 v[8:11], v6, s[sgprSrdD:sgprSrdD+3], 0, offen, offset:0,  nt // store D
_buffer_store_b128 v[12:15], v6, s[sgprSrdD:sgprSrdD+3], 0, offen, offset:1024,  nt // store D
s_lshl_b32  s56, s[sgprStrideD1J], 3               // incToNextRow: Scale by BPE
s_add_u32  s[sgprSrdD+0], s[sgprSrdD+0], s56       // incToNextRow: gra SRD += inc(lower)
s_addc_u32  s[sgprSrdD+1], s[sgprSrdD+1], 0        // incToNextRow: gra SRD += inc(upper)
_buffer_store_b128 v[16:19], v6, s[sgprSrdD:sgprSrdD+3], 0, offen, offset:0,  nt // store D
_buffer_store_b128 v[20:23], v6, s[sgprSrdD:sgprSrdD+3], 0, offen, offset:1024,  nt // store D
s_nop 0                                            // 1 wait state required when next inst writes vgprs held by previous dwordx4 store inst
/* optSingleColVgpr=1 optSharedColVgpr=0 optSGPRUsage=BufferLoad_Mask optSrdIncForRow=1 */
s_sleep 3 // optimization: sync and wait
s_barrier

/******************************************/
/* Global Write Batch #7 (d1,d0,vc1,vc0) = */
/*    (3,0,2,0:vw2); (3,1,2,0:vw2); (3,0,3,0:vw2); (3,1,3,0:vw2) */
/******************************************/

/* calc coords, apply mask, and issue loads (if necessary) */
/* (d1,vc1,d0,vc0)=(3,2,0,0) */
/* (d1,vc1,d0,vc0)=(3,2,1,0) */
	;; [unrolled: 1-line block ×4, first 2 shown]
v_accvgpr_read_b32 v[vgprValuC+8], acc50 // copy acc to vreg[112]
v_accvgpr_read_b32 v[vgprValuC+9], acc162 // copy acc to vreg[113]
v_accvgpr_read_b32 v[vgprValuC+10], acc54 // copy acc to vreg[114]
v_accvgpr_read_b32 v[vgprValuC+11], acc166 // copy acc to vreg[115]
v_accvgpr_read_b32 v[vgprValuC+12], acc58 // copy acc to vreg[116]
v_accvgpr_read_b32 v[vgprValuC+13], acc170 // copy acc to vreg[117]
v_accvgpr_read_b32 v[vgprValuC+14], acc62 // copy acc to vreg[118]
v_accvgpr_read_b32 v[vgprValuC+15], acc174 // copy acc to vreg[119]
v_accvgpr_read_b32 v[vgprValuC+16], acc51 // copy acc to vreg[120]
v_accvgpr_read_b32 v[vgprValuC+17], acc163 // copy acc to vreg[121]
v_accvgpr_read_b32 v[vgprValuC+18], acc55 // copy acc to vreg[122]
v_accvgpr_read_b32 v[vgprValuC+19], acc167 // copy acc to vreg[123]
v_accvgpr_read_b32 v[vgprValuC+20], acc59 // copy acc to vreg[124]
v_accvgpr_read_b32 v[vgprValuC+21], acc171 // copy acc to vreg[125]
v_accvgpr_read_b32 v[vgprValuC+22], acc63 // copy acc to vreg[126]
v_accvgpr_read_b32 v[vgprValuC+23], acc175 // copy acc to vreg[127]
s_nop 1                                            // 2 wait states required before reading vgpr

/* apply mask, calc new C and issue writes */
s_lshl_b32  s56, s[sgprStrideD1J], 3               // incToNextRow: Scale by BPE
s_add_u32  s[sgprSrdD+0], s[sgprSrdD+0], s56       // incToNextRow: gra SRD += inc(lower)
s_addc_u32  s[sgprSrdD+1], s[sgprSrdD+1], 0        // incToNextRow: gra SRD += inc(upper)
_buffer_store_b128 v[8:11], v6, s[sgprSrdD:sgprSrdD+3], 0, offen, offset:0,  nt // store D
_buffer_store_b128 v[12:15], v6, s[sgprSrdD:sgprSrdD+3], 0, offen, offset:1024,  nt // store D
s_lshl_b32  s56, s[sgprStrideD1J], 3               // incToNextRow: Scale by BPE
s_add_u32  s[sgprSrdD+0], s[sgprSrdD+0], s56       // incToNextRow: gra SRD += inc(lower)
s_addc_u32  s[sgprSrdD+1], s[sgprSrdD+1], 0        // incToNextRow: gra SRD += inc(upper)
_buffer_store_b128 v[16:19], v6, s[sgprSrdD:sgprSrdD+3], 0, offen, offset:0,  nt // store D
_buffer_store_b128 v[20:23], v6, s[sgprSrdD:sgprSrdD+3], 0, offen, offset:1024,  nt // store D
s_nop 0                                            // 1 wait state required when next inst writes vgprs held by previous dwordx4 store inst
/* optSingleColVgpr=1 optSharedColVgpr=0 optSGPRUsage=BufferLoad_Mask optSrdIncForRow=1 */
s_sleep 3 // optimization: sync and wait
s_barrier

/******************************************/
/* Global Write Batch #8 (d1,d0,vc1,vc0) = */
/*    (4,0,0,0:vw2); (4,1,0,0:vw2); (4,0,1,0:vw2); (4,1,1,0:vw2) */
/******************************************/

/* calc coords, apply mask, and issue loads (if necessary) */
/* (d1,vc1,d0,vc0)=(4,0,0,0) */
/* (d1,vc1,d0,vc0)=(4,0,1,0) */
	;; [unrolled: 1-line block ×4, first 2 shown]
v_accvgpr_read_b32 v[vgprValuC+8], acc64 // copy acc to vreg[128]
v_accvgpr_read_b32 v[vgprValuC+9], acc176 // copy acc to vreg[129]
v_accvgpr_read_b32 v[vgprValuC+10], acc68 // copy acc to vreg[130]
v_accvgpr_read_b32 v[vgprValuC+11], acc180 // copy acc to vreg[131]
v_accvgpr_read_b32 v[vgprValuC+12], acc72 // copy acc to vreg[132]
v_accvgpr_read_b32 v[vgprValuC+13], acc184 // copy acc to vreg[133]
v_accvgpr_read_b32 v[vgprValuC+14], acc76 // copy acc to vreg[134]
v_accvgpr_read_b32 v[vgprValuC+15], acc188 // copy acc to vreg[135]
v_accvgpr_read_b32 v[vgprValuC+16], acc65 // copy acc to vreg[136]
v_accvgpr_read_b32 v[vgprValuC+17], acc177 // copy acc to vreg[137]
v_accvgpr_read_b32 v[vgprValuC+18], acc69 // copy acc to vreg[138]
v_accvgpr_read_b32 v[vgprValuC+19], acc181 // copy acc to vreg[139]
v_accvgpr_read_b32 v[vgprValuC+20], acc73 // copy acc to vreg[140]
v_accvgpr_read_b32 v[vgprValuC+21], acc185 // copy acc to vreg[141]
v_accvgpr_read_b32 v[vgprValuC+22], acc77 // copy acc to vreg[142]
v_accvgpr_read_b32 v[vgprValuC+23], acc189 // copy acc to vreg[143]
s_nop 1                                            // 2 wait states required before reading vgpr

/* apply mask, calc new C and issue writes */
s_mul_i32 s56, s[sgprStrideD1J], 104               // scale StrideD *= numRows(13) * bpe
s_add_u32  s[sgprSrdD+0], s[sgprSrdD+0], s56       // incToNextRow: gra SRD += inc(lower)
s_addc_u32  s[sgprSrdD+1], s[sgprSrdD+1], 0        // incToNextRow: gra SRD += inc(upper)
_buffer_store_b128 v[8:11], v6, s[sgprSrdD:sgprSrdD+3], 0, offen, offset:0,  nt // store D
_buffer_store_b128 v[12:15], v6, s[sgprSrdD:sgprSrdD+3], 0, offen, offset:1024,  nt // store D
s_lshl_b32  s56, s[sgprStrideD1J], 3               // incToNextRow: Scale by BPE
s_add_u32  s[sgprSrdD+0], s[sgprSrdD+0], s56       // incToNextRow: gra SRD += inc(lower)
s_addc_u32  s[sgprSrdD+1], s[sgprSrdD+1], 0        // incToNextRow: gra SRD += inc(upper)
_buffer_store_b128 v[16:19], v6, s[sgprSrdD:sgprSrdD+3], 0, offen, offset:0,  nt // store D
_buffer_store_b128 v[20:23], v6, s[sgprSrdD:sgprSrdD+3], 0, offen, offset:1024,  nt // store D
s_nop 0                                            // 1 wait state required when next inst writes vgprs held by previous dwordx4 store inst
/* optSingleColVgpr=1 optSharedColVgpr=0 optSGPRUsage=BufferLoad_Mask optSrdIncForRow=1 */
s_sleep 3 // optimization: sync and wait
s_barrier

/******************************************/
/* Global Write Batch #9 (d1,d0,vc1,vc0) = */
/*    (4,0,2,0:vw2); (4,1,2,0:vw2); (4,0,3,0:vw2); (4,1,3,0:vw2) */
/******************************************/

/* calc coords, apply mask, and issue loads (if necessary) */
/* (d1,vc1,d0,vc0)=(4,2,0,0) */
/* (d1,vc1,d0,vc0)=(4,2,1,0) */
	;; [unrolled: 1-line block ×4, first 2 shown]
v_accvgpr_read_b32 v[vgprValuC+8], acc66 // copy acc to vreg[144]
v_accvgpr_read_b32 v[vgprValuC+9], acc178 // copy acc to vreg[145]
v_accvgpr_read_b32 v[vgprValuC+10], acc70 // copy acc to vreg[146]
v_accvgpr_read_b32 v[vgprValuC+11], acc182 // copy acc to vreg[147]
v_accvgpr_read_b32 v[vgprValuC+12], acc74 // copy acc to vreg[148]
v_accvgpr_read_b32 v[vgprValuC+13], acc186 // copy acc to vreg[149]
v_accvgpr_read_b32 v[vgprValuC+14], acc78 // copy acc to vreg[150]
v_accvgpr_read_b32 v[vgprValuC+15], acc190 // copy acc to vreg[151]
v_accvgpr_read_b32 v[vgprValuC+16], acc67 // copy acc to vreg[152]
v_accvgpr_read_b32 v[vgprValuC+17], acc179 // copy acc to vreg[153]
v_accvgpr_read_b32 v[vgprValuC+18], acc71 // copy acc to vreg[154]
v_accvgpr_read_b32 v[vgprValuC+19], acc183 // copy acc to vreg[155]
v_accvgpr_read_b32 v[vgprValuC+20], acc75 // copy acc to vreg[156]
v_accvgpr_read_b32 v[vgprValuC+21], acc187 // copy acc to vreg[157]
v_accvgpr_read_b32 v[vgprValuC+22], acc79 // copy acc to vreg[158]
v_accvgpr_read_b32 v[vgprValuC+23], acc191 // copy acc to vreg[159]
s_nop 1                                            // 2 wait states required before reading vgpr

/* apply mask, calc new C and issue writes */
s_lshl_b32  s56, s[sgprStrideD1J], 3               // incToNextRow: Scale by BPE
s_add_u32  s[sgprSrdD+0], s[sgprSrdD+0], s56       // incToNextRow: gra SRD += inc(lower)
s_addc_u32  s[sgprSrdD+1], s[sgprSrdD+1], 0        // incToNextRow: gra SRD += inc(upper)
_buffer_store_b128 v[8:11], v6, s[sgprSrdD:sgprSrdD+3], 0, offen, offset:0,  nt // store D
_buffer_store_b128 v[12:15], v6, s[sgprSrdD:sgprSrdD+3], 0, offen, offset:1024,  nt // store D
s_lshl_b32  s56, s[sgprStrideD1J], 3               // incToNextRow: Scale by BPE
s_add_u32  s[sgprSrdD+0], s[sgprSrdD+0], s56       // incToNextRow: gra SRD += inc(lower)
s_addc_u32  s[sgprSrdD+1], s[sgprSrdD+1], 0        // incToNextRow: gra SRD += inc(upper)
_buffer_store_b128 v[16:19], v6, s[sgprSrdD:sgprSrdD+3], 0, offen, offset:0,  nt // store D
_buffer_store_b128 v[20:23], v6, s[sgprSrdD:sgprSrdD+3], 0, offen, offset:1024,  nt // store D
s_nop 0                                            // 1 wait state required when next inst writes vgprs held by previous dwordx4 store inst
/* optSingleColVgpr=1 optSharedColVgpr=0 optSGPRUsage=BufferLoad_Mask optSrdIncForRow=1 */
s_sleep 3 // optimization: sync and wait
s_barrier

/******************************************/
/* Global Write Batch #10 (d1,d0,vc1,vc0) = */
/*    (5,0,0,0:vw2); (5,1,0,0:vw2); (5,0,1,0:vw2); (5,1,1,0:vw2) */
/******************************************/

/* calc coords, apply mask, and issue loads (if necessary) */
/* (d1,vc1,d0,vc0)=(5,0,0,0) */
/* (d1,vc1,d0,vc0)=(5,0,1,0) */
	;; [unrolled: 1-line block ×4, first 2 shown]
v_accvgpr_read_b32 v[vgprValuC+8], acc80 // copy acc to vreg[160]
v_accvgpr_read_b32 v[vgprValuC+9], acc192 // copy acc to vreg[161]
v_accvgpr_read_b32 v[vgprValuC+10], acc84 // copy acc to vreg[162]
v_accvgpr_read_b32 v[vgprValuC+11], acc196 // copy acc to vreg[163]
v_accvgpr_read_b32 v[vgprValuC+12], acc88 // copy acc to vreg[164]
v_accvgpr_read_b32 v[vgprValuC+13], acc200 // copy acc to vreg[165]
v_accvgpr_read_b32 v[vgprValuC+14], acc92 // copy acc to vreg[166]
v_accvgpr_read_b32 v[vgprValuC+15], acc204 // copy acc to vreg[167]
v_accvgpr_read_b32 v[vgprValuC+16], acc81 // copy acc to vreg[168]
v_accvgpr_read_b32 v[vgprValuC+17], acc193 // copy acc to vreg[169]
v_accvgpr_read_b32 v[vgprValuC+18], acc85 // copy acc to vreg[170]
v_accvgpr_read_b32 v[vgprValuC+19], acc197 // copy acc to vreg[171]
v_accvgpr_read_b32 v[vgprValuC+20], acc89 // copy acc to vreg[172]
v_accvgpr_read_b32 v[vgprValuC+21], acc201 // copy acc to vreg[173]
v_accvgpr_read_b32 v[vgprValuC+22], acc93 // copy acc to vreg[174]
v_accvgpr_read_b32 v[vgprValuC+23], acc205 // copy acc to vreg[175]
s_nop 1                                            // 2 wait states required before reading vgpr

/* apply mask, calc new C and issue writes */
s_mul_i32 s56, s[sgprStrideD1J], 104               // scale StrideD *= numRows(13) * bpe
s_add_u32  s[sgprSrdD+0], s[sgprSrdD+0], s56       // incToNextRow: gra SRD += inc(lower)
s_addc_u32  s[sgprSrdD+1], s[sgprSrdD+1], 0        // incToNextRow: gra SRD += inc(upper)
_buffer_store_b128 v[8:11], v6, s[sgprSrdD:sgprSrdD+3], 0, offen, offset:0,  nt // store D
_buffer_store_b128 v[12:15], v6, s[sgprSrdD:sgprSrdD+3], 0, offen, offset:1024,  nt // store D
s_lshl_b32  s56, s[sgprStrideD1J], 3               // incToNextRow: Scale by BPE
s_add_u32  s[sgprSrdD+0], s[sgprSrdD+0], s56       // incToNextRow: gra SRD += inc(lower)
s_addc_u32  s[sgprSrdD+1], s[sgprSrdD+1], 0        // incToNextRow: gra SRD += inc(upper)
_buffer_store_b128 v[16:19], v6, s[sgprSrdD:sgprSrdD+3], 0, offen, offset:0,  nt // store D
_buffer_store_b128 v[20:23], v6, s[sgprSrdD:sgprSrdD+3], 0, offen, offset:1024,  nt // store D
s_nop 0                                            // 1 wait state required when next inst writes vgprs held by previous dwordx4 store inst
/* optSingleColVgpr=1 optSharedColVgpr=0 optSGPRUsage=BufferLoad_Mask optSrdIncForRow=1 */
s_sleep 3 // optimization: sync and wait
s_barrier

/******************************************/
/* Global Write Batch #11 (d1,d0,vc1,vc0) = */
/*    (5,0,2,0:vw2); (5,1,2,0:vw2); (5,0,3,0:vw2); (5,1,3,0:vw2) */
/******************************************/

/* calc coords, apply mask, and issue loads (if necessary) */
/* (d1,vc1,d0,vc0)=(5,2,0,0) */
/* (d1,vc1,d0,vc0)=(5,2,1,0) */
	;; [unrolled: 1-line block ×4, first 2 shown]
v_accvgpr_read_b32 v[vgprValuC+8], acc82 // copy acc to vreg[176]
v_accvgpr_read_b32 v[vgprValuC+9], acc194 // copy acc to vreg[177]
v_accvgpr_read_b32 v[vgprValuC+10], acc86 // copy acc to vreg[178]
v_accvgpr_read_b32 v[vgprValuC+11], acc198 // copy acc to vreg[179]
v_accvgpr_read_b32 v[vgprValuC+12], acc90 // copy acc to vreg[180]
v_accvgpr_read_b32 v[vgprValuC+13], acc202 // copy acc to vreg[181]
v_accvgpr_read_b32 v[vgprValuC+14], acc94 // copy acc to vreg[182]
v_accvgpr_read_b32 v[vgprValuC+15], acc206 // copy acc to vreg[183]
v_accvgpr_read_b32 v[vgprValuC+16], acc83 // copy acc to vreg[184]
v_accvgpr_read_b32 v[vgprValuC+17], acc195 // copy acc to vreg[185]
v_accvgpr_read_b32 v[vgprValuC+18], acc87 // copy acc to vreg[186]
v_accvgpr_read_b32 v[vgprValuC+19], acc199 // copy acc to vreg[187]
v_accvgpr_read_b32 v[vgprValuC+20], acc91 // copy acc to vreg[188]
v_accvgpr_read_b32 v[vgprValuC+21], acc203 // copy acc to vreg[189]
v_accvgpr_read_b32 v[vgprValuC+22], acc95 // copy acc to vreg[190]
v_accvgpr_read_b32 v[vgprValuC+23], acc207 // copy acc to vreg[191]
s_nop 1                                            // 2 wait states required before reading vgpr

/* apply mask, calc new C and issue writes */
s_lshl_b32  s56, s[sgprStrideD1J], 3               // incToNextRow: Scale by BPE
s_add_u32  s[sgprSrdD+0], s[sgprSrdD+0], s56       // incToNextRow: gra SRD += inc(lower)
s_addc_u32  s[sgprSrdD+1], s[sgprSrdD+1], 0        // incToNextRow: gra SRD += inc(upper)
_buffer_store_b128 v[8:11], v6, s[sgprSrdD:sgprSrdD+3], 0, offen, offset:0,  nt // store D
_buffer_store_b128 v[12:15], v6, s[sgprSrdD:sgprSrdD+3], 0, offen, offset:1024,  nt // store D
s_lshl_b32  s56, s[sgprStrideD1J], 3               // incToNextRow: Scale by BPE
s_add_u32  s[sgprSrdD+0], s[sgprSrdD+0], s56       // incToNextRow: gra SRD += inc(lower)
s_addc_u32  s[sgprSrdD+1], s[sgprSrdD+1], 0        // incToNextRow: gra SRD += inc(upper)
_buffer_store_b128 v[16:19], v6, s[sgprSrdD:sgprSrdD+3], 0, offen, offset:0,  nt // store D
_buffer_store_b128 v[20:23], v6, s[sgprSrdD:sgprSrdD+3], 0, offen, offset:1024,  nt // store D
s_nop 0                                            // 1 wait state required when next inst writes vgprs held by previous dwordx4 store inst
/* optSingleColVgpr=1 optSharedColVgpr=0 optSGPRUsage=BufferLoad_Mask optSrdIncForRow=1 */
s_sleep 3 // optimization: sync and wait
s_barrier

/******************************************/
/* Global Write Batch #12 (d1,d0,vc1,vc0) = */
/*    (6,0,0,0:vw2); (6,1,0,0:vw2); (6,0,1,0:vw2); (6,1,1,0:vw2) */
/******************************************/

/* calc coords, apply mask, and issue loads (if necessary) */
/* (d1,vc1,d0,vc0)=(6,0,0,0) */
/* (d1,vc1,d0,vc0)=(6,0,1,0) */
	;; [unrolled: 1-line block ×4, first 2 shown]
v_accvgpr_read_b32 v[vgprValuC+8], acc96 // copy acc to vreg[192]
v_accvgpr_read_b32 v[vgprValuC+9], acc208 // copy acc to vreg[193]
v_accvgpr_read_b32 v[vgprValuC+10], acc100 // copy acc to vreg[194]
v_accvgpr_read_b32 v[vgprValuC+11], acc212 // copy acc to vreg[195]
v_accvgpr_read_b32 v[vgprValuC+12], acc104 // copy acc to vreg[196]
v_accvgpr_read_b32 v[vgprValuC+13], acc216 // copy acc to vreg[197]
v_accvgpr_read_b32 v[vgprValuC+14], acc108 // copy acc to vreg[198]
v_accvgpr_read_b32 v[vgprValuC+15], acc220 // copy acc to vreg[199]
v_accvgpr_read_b32 v[vgprValuC+16], acc97 // copy acc to vreg[200]
v_accvgpr_read_b32 v[vgprValuC+17], acc209 // copy acc to vreg[201]
v_accvgpr_read_b32 v[vgprValuC+18], acc101 // copy acc to vreg[202]
v_accvgpr_read_b32 v[vgprValuC+19], acc213 // copy acc to vreg[203]
v_accvgpr_read_b32 v[vgprValuC+20], acc105 // copy acc to vreg[204]
v_accvgpr_read_b32 v[vgprValuC+21], acc217 // copy acc to vreg[205]
v_accvgpr_read_b32 v[vgprValuC+22], acc109 // copy acc to vreg[206]
v_accvgpr_read_b32 v[vgprValuC+23], acc221 // copy acc to vreg[207]
s_nop 1                                            // 2 wait states required before reading vgpr

/* apply mask, calc new C and issue writes */
s_mul_i32 s56, s[sgprStrideD1J], 104               // scale StrideD *= numRows(13) * bpe
s_add_u32  s[sgprSrdD+0], s[sgprSrdD+0], s56       // incToNextRow: gra SRD += inc(lower)
s_addc_u32  s[sgprSrdD+1], s[sgprSrdD+1], 0        // incToNextRow: gra SRD += inc(upper)
_buffer_store_b128 v[8:11], v6, s[sgprSrdD:sgprSrdD+3], 0, offen, offset:0,  nt // store D
_buffer_store_b128 v[12:15], v6, s[sgprSrdD:sgprSrdD+3], 0, offen, offset:1024,  nt // store D
s_lshl_b32  s56, s[sgprStrideD1J], 3               // incToNextRow: Scale by BPE
s_add_u32  s[sgprSrdD+0], s[sgprSrdD+0], s56       // incToNextRow: gra SRD += inc(lower)
s_addc_u32  s[sgprSrdD+1], s[sgprSrdD+1], 0        // incToNextRow: gra SRD += inc(upper)
_buffer_store_b128 v[16:19], v6, s[sgprSrdD:sgprSrdD+3], 0, offen, offset:0,  nt // store D
_buffer_store_b128 v[20:23], v6, s[sgprSrdD:sgprSrdD+3], 0, offen, offset:1024,  nt // store D
s_nop 0                                            // 1 wait state required when next inst writes vgprs held by previous dwordx4 store inst
/* optSingleColVgpr=1 optSharedColVgpr=0 optSGPRUsage=BufferLoad_Mask optSrdIncForRow=1 */
s_sleep 3 // optimization: sync and wait
s_barrier

/******************************************/
/* Global Write Batch #13 (d1,d0,vc1,vc0) = */
/*    (6,0,2,0:vw2); (6,1,2,0:vw2); (6,0,3,0:vw2); (6,1,3,0:vw2) */
/******************************************/

/* calc coords, apply mask, and issue loads (if necessary) */
/* (d1,vc1,d0,vc0)=(6,2,0,0) */
/* (d1,vc1,d0,vc0)=(6,2,1,0) */
	;; [unrolled: 1-line block ×4, first 2 shown]
v_accvgpr_read_b32 v[vgprValuC+8], acc98 // copy acc to vreg[208]
v_accvgpr_read_b32 v[vgprValuC+9], acc210 // copy acc to vreg[209]
v_accvgpr_read_b32 v[vgprValuC+10], acc102 // copy acc to vreg[210]
v_accvgpr_read_b32 v[vgprValuC+11], acc214 // copy acc to vreg[211]
v_accvgpr_read_b32 v[vgprValuC+12], acc106 // copy acc to vreg[212]
v_accvgpr_read_b32 v[vgprValuC+13], acc218 // copy acc to vreg[213]
v_accvgpr_read_b32 v[vgprValuC+14], acc110 // copy acc to vreg[214]
v_accvgpr_read_b32 v[vgprValuC+15], acc222 // copy acc to vreg[215]
v_accvgpr_read_b32 v[vgprValuC+16], acc99 // copy acc to vreg[216]
v_accvgpr_read_b32 v[vgprValuC+17], acc211 // copy acc to vreg[217]
v_accvgpr_read_b32 v[vgprValuC+18], acc103 // copy acc to vreg[218]
v_accvgpr_read_b32 v[vgprValuC+19], acc215 // copy acc to vreg[219]
v_accvgpr_read_b32 v[vgprValuC+20], acc107 // copy acc to vreg[220]
v_accvgpr_read_b32 v[vgprValuC+21], acc219 // copy acc to vreg[221]
v_accvgpr_read_b32 v[vgprValuC+22], acc111 // copy acc to vreg[222]
v_accvgpr_read_b32 v[vgprValuC+23], acc223 // copy acc to vreg[223]
s_nop 1                                            // 2 wait states required before reading vgpr

/* apply mask, calc new C and issue writes */
s_lshl_b32  s56, s[sgprStrideD1J], 3               // incToNextRow: Scale by BPE
s_add_u32  s[sgprSrdD+0], s[sgprSrdD+0], s56       // incToNextRow: gra SRD += inc(lower)
s_addc_u32  s[sgprSrdD+1], s[sgprSrdD+1], 0        // incToNextRow: gra SRD += inc(upper)
_buffer_store_b128 v[8:11], v6, s[sgprSrdD:sgprSrdD+3], 0, offen, offset:0,  nt // store D
_buffer_store_b128 v[12:15], v6, s[sgprSrdD:sgprSrdD+3], 0, offen, offset:1024,  nt // store D
s_lshl_b32  s56, s[sgprStrideD1J], 3               // incToNextRow: Scale by BPE
s_add_u32  s[sgprSrdD+0], s[sgprSrdD+0], s56       // incToNextRow: gra SRD += inc(lower)
s_addc_u32  s[sgprSrdD+1], s[sgprSrdD+1], 0        // incToNextRow: gra SRD += inc(upper)
_buffer_store_b128 v[16:19], v6, s[sgprSrdD:sgprSrdD+3], 0, offen, offset:0,  nt // store D
_buffer_store_b128 v[20:23], v6, s[sgprSrdD:sgprSrdD+3], 0, offen, offset:1024,  nt // store D
s_nop 0                                            // 1 wait state required when next inst writes vgprs held by previous dwordx4 store inst
s_branch label_GW_End_23                           // jump to end
label_GW_End_23:

s_endpgm                                           // Kernel End
OptNLL_End_17:


/******************************************/
/* Ord. NoLoadLoop - Begin                                      */
/******************************************/


	;; [unrolled: 1-line block ×4, first 2 shown]
/* iter 0 (last unrolled loop) */

/*  grEndMfmaIndex:0, lwStartMfmaIndex:430, lwEndMfmaIndex:430  */
/*  numMfmaForLR:15, barrierMfmaIndex:432, LocalWritePerMfma:0.055 */
/*  mfmaIndex:0  */
s_waitcnt lgkmcnt(0)                               // lgkmcnt=0 vmcnt=-1wait for prior local read local write old=0, new=0 newLW=0 newLR=0
v_add_f32 v141, -v[vgprValuA_X0_I0+0+0+0+1], 0     // Ai=-Ai
v_mfma_f32_16x16x4_f32 a[0+0:3+0], v[vgprValuB_X0_I0+0+0+0], v[vgprValuA_X0_I0+0+0+0], a[0:3]
 // Cr += Ar*Br
/*  mfmaIndex:1  */
_ds_load_b128 v[vgprValuA_X2_I0+0:vgprValuA_X2_I0+0+3], v[vgprLocalReadAddrA] offset:64 // L -> Reg lro=8 swapByteOffset=0 ti=128 vIdx=0 rIdx=0 oIdx=0 buffer=2 iui=0
v_mfma_f32_16x16x4_f32 a[112+0:115+0], v[vgprValuB_X0_I0+0+0+0], v[vgprValuA_X0_I0+0+0+0+1], a[112:115]
 // Ci += Ai*Br
/*  mfmaIndex:2  */
_ds_load_b128 v[vgprValuB_X2_I0+0:vgprValuB_X2_I0+0+3], v[vgprLocalReadAddrB] offset:64 // L -> Reg lro=8 swapByteOffset=0 ti=16 vIdx=0 rIdx=0 oIdx=0 buffer=2 iui=0
v_mfma_f32_16x16x4_f32 a[0+0:3+0], v[vgprValuB_X0_I0+0+0+0+1], v141, a[0:3]
 // Cr += -Ai*Bi
/*  mfmaIndex:3  */
_ds_load_b128 v[vgprValuA_X2_I0+4:vgprValuA_X2_I0+4+3], v[vgprLocalReadAddrA] offset:192 // L -> Reg lro=8 swapByteOffset=0 ti=128 vIdx=0 rIdx=0 oIdx=0 buffer=2 iui=0
v_mfma_f32_16x16x4_f32 a[112+0:115+0], v[vgprValuB_X0_I0+0+0+0+1], v[vgprValuA_X0_I0+0+0+0], a[112:115]
 // Ci += Ar*Bi
/*  mfmaIndex:4  */
_ds_load_b128 v[vgprValuA_X2_I0+8:vgprValuA_X2_I0+8+3], v[vgprLocalReadAddrA] offset:18496 // L -> Reg lro=8 swapByteOffset=0 ti=128 vIdx=1 rIdx=0 oIdx=0 buffer=2 iui=0
v_mfma_f32_16x16x4_f32 a[16+0:19+0], v[vgprValuB_X0_I0+4+0+0], v[vgprValuA_X0_I0+0+0+0], a[16:19]
 // Cr += Ar*Br
/*  mfmaIndex:5  */
_ds_load_b128 v[vgprValuA_X2_I0+12:vgprValuA_X2_I0+12+3], v[vgprLocalReadAddrA] offset:18624 // L -> Reg lro=8 swapByteOffset=0 ti=128 vIdx=1 rIdx=0 oIdx=0 buffer=2 iui=0
v_mfma_f32_16x16x4_f32 a[128+0:131+0], v[vgprValuB_X0_I0+4+0+0], v[vgprValuA_X0_I0+0+0+0+1], a[128:131]
 // Ci += Ai*Br
/*  mfmaIndex:6  */
_ds_load_b128 v[vgprValuB_X2_I0+4:vgprValuB_X2_I0+4+3], v[vgprLocalReadAddrB] offset:2624 // L -> Reg lro=8 swapByteOffset=0 ti=16 vIdx=1 rIdx=0 oIdx=0 buffer=2 iui=0
v_mfma_f32_16x16x4_f32 a[16+0:19+0], v[vgprValuB_X0_I0+4+0+0+1], v141, a[16:19]
 // Cr += -Ai*Bi
/*  mfmaIndex:7  */
_ds_load_b128 v[vgprValuB_X2_I0+8:vgprValuB_X2_I0+8+3], v[vgprLocalReadAddrB] offset:5184 // L -> Reg lro=8 swapByteOffset=0 ti=16 vIdx=2 rIdx=0 oIdx=0 buffer=2 iui=0
v_mfma_f32_16x16x4_f32 a[128+0:131+0], v[vgprValuB_X0_I0+4+0+0+1], v[vgprValuA_X0_I0+0+0+0], a[128:131]
 // Ci += Ar*Bi
/*  mfmaIndex:8  */
_ds_load_b128 v[vgprValuB_X2_I0+12:vgprValuB_X2_I0+12+3], v[vgprLocalReadAddrB] offset:7744 // L -> Reg lro=8 swapByteOffset=0 ti=16 vIdx=3 rIdx=0 oIdx=0 buffer=2 iui=0
v_mfma_f32_16x16x4_f32 a[32+0:35+0], v[vgprValuB_X0_I0+8+0+0], v[vgprValuA_X0_I0+0+0+0], a[32:35]
 // Cr += Ar*Br
/*  mfmaIndex:9  */
_ds_load_b128 v[vgprValuB_X2_I0+16:vgprValuB_X2_I0+16+3], v[vgprLocalReadAddrB] offset:10304 // L -> Reg lro=8 swapByteOffset=0 ti=16 vIdx=4 rIdx=0 oIdx=0 buffer=2 iui=0
v_mfma_f32_16x16x4_f32 a[144+0:147+0], v[vgprValuB_X0_I0+8+0+0], v[vgprValuA_X0_I0+0+0+0+1], a[144:147]
 // Ci += Ai*Br
/*  mfmaIndex:10  */
_ds_load_b128 v[vgprValuB_X2_I0+20:vgprValuB_X2_I0+20+3], v[vgprLocalReadAddrB] offset:12864 // L -> Reg lro=8 swapByteOffset=0 ti=16 vIdx=5 rIdx=0 oIdx=0 buffer=2 iui=0
v_mfma_f32_16x16x4_f32 a[32+0:35+0], v[vgprValuB_X0_I0+8+0+0+1], v141, a[32:35]
 // Cr += -Ai*Bi
/*  mfmaIndex:11  */
_ds_load_b128 v[vgprValuB_X2_I0+24:vgprValuB_X2_I0+24+3], v[vgprLocalReadAddrB] offset:15424 // L -> Reg lro=8 swapByteOffset=0 ti=16 vIdx=6 rIdx=0 oIdx=0 buffer=2 iui=0
/* localReadsVacancy: latencyLeft 1 */
v_mfma_f32_16x16x4_f32 a[144+0:147+0], v[vgprValuB_X0_I0+8+0+0+1], v[vgprValuA_X0_I0+0+0+0], a[144:147]
 // Ci += Ar*Bi
/*  mfmaIndex:12  */
/* localReadsVacancy: latencyLeft 5 */
v_mfma_f32_16x16x4_f32 a[48+0:51+0], v[vgprValuB_X0_I0+12+0+0], v[vgprValuA_X0_I0+0+0+0], a[48:51]
 // Cr += Ar*Br
/*  mfmaIndex:13  */
/* localReadsVacancy: latencyLeft 5 */
v_mfma_f32_16x16x4_f32 a[160+0:163+0], v[vgprValuB_X0_I0+12+0+0], v[vgprValuA_X0_I0+0+0+0+1], a[160:163]
 // Ci += Ai*Br
/*  mfmaIndex:14  */
/* localReadsVacancy: latencyLeft 5 */
v_mfma_f32_16x16x4_f32 a[48+0:51+0], v[vgprValuB_X0_I0+12+0+0+1], v141, a[48:51]
 // Cr += -Ai*Bi
/*  mfmaIndex:15  */
/* localReadsVacancy: latencyLeft 5 */
v_mfma_f32_16x16x4_f32 a[160+0:163+0], v[vgprValuB_X0_I0+12+0+0+1], v[vgprValuA_X0_I0+0+0+0], a[160:163]
 // Ci += Ar*Bi
/*  mfmaIndex:16  */
/* localReadsVacancy: latencyLeft 5 */
v_mfma_f32_16x16x4_f32 a[64+0:67+0], v[vgprValuB_X0_I0+16+0+0], v[vgprValuA_X0_I0+0+0+0], a[64:67]
 // Cr += Ar*Br
/*  mfmaIndex:17  */
/* localReadsVacancy: latencyLeft 5 */
v_mfma_f32_16x16x4_f32 a[176+0:179+0], v[vgprValuB_X0_I0+16+0+0], v[vgprValuA_X0_I0+0+0+0+1], a[176:179]
 // Ci += Ai*Br
/*  mfmaIndex:18  */
/* localReadsVacancy: latencyLeft 5 */
v_mfma_f32_16x16x4_f32 a[64+0:67+0], v[vgprValuB_X0_I0+16+0+0+1], v141, a[64:67]
 // Cr += -Ai*Bi
/*  mfmaIndex:19  */
	;; [unrolled: 16-line block ×4, first 2 shown]
/* localReadsVacancy: latencyLeft 5 */
v_mfma_f32_16x16x4_f32 a[208+0:211+0], v[vgprValuB_X0_I0+24+0+0+1], v[vgprValuA_X0_I0+0+0+0], a[208:211]
 // Ci += Ar*Bi
/*  mfmaIndex:28  */
/* localReadsVacancy: latencyLeft 5 */
v_add_f32 v141, -v[vgprValuA_X0_I0+4+0+0+1], 0     // Ai=-Ai
v_mfma_f32_16x16x4_f32 a[4+0:7+0], v[vgprValuB_X0_I0+0+0+0], v[vgprValuA_X0_I0+4+0+0], a[4:7]
 // Cr += Ar*Br
/*  mfmaIndex:29  */
/* localReadsVacancy: latencyLeft 5 */
v_mfma_f32_16x16x4_f32 a[116+0:119+0], v[vgprValuB_X0_I0+0+0+0], v[vgprValuA_X0_I0+4+0+0+1], a[116:119]
 // Ci += Ai*Br
/*  mfmaIndex:30  */
/* localReadsVacancy: latencyLeft 5 */
v_mfma_f32_16x16x4_f32 a[4+0:7+0], v[vgprValuB_X0_I0+0+0+0+1], v141, a[4:7]
 // Cr += -Ai*Bi
/*  mfmaIndex:31  */
/* localReadsVacancy: latencyLeft 5 */
v_mfma_f32_16x16x4_f32 a[116+0:119+0], v[vgprValuB_X0_I0+0+0+0+1], v[vgprValuA_X0_I0+4+0+0], a[116:119]
 // Ci += Ar*Bi
/*  mfmaIndex:32  */
/* localReadsVacancy: latencyLeft 5 */
v_mfma_f32_16x16x4_f32 a[20+0:23+0], v[vgprValuB_X0_I0+4+0+0], v[vgprValuA_X0_I0+4+0+0], a[20:23]
 // Cr += Ar*Br
/*  mfmaIndex:33  */
/* localReadsVacancy: latencyLeft 5 */
v_mfma_f32_16x16x4_f32 a[132+0:135+0], v[vgprValuB_X0_I0+4+0+0], v[vgprValuA_X0_I0+4+0+0+1], a[132:135]
 // Ci += Ai*Br
/*  mfmaIndex:34  */
/* localReadsVacancy: latencyLeft 5 */
v_mfma_f32_16x16x4_f32 a[20+0:23+0], v[vgprValuB_X0_I0+4+0+0+1], v141, a[20:23]
 // Cr += -Ai*Bi
/*  mfmaIndex:35  */
/* localReadsVacancy: latencyLeft 5 */
v_mfma_f32_16x16x4_f32 a[132+0:135+0], v[vgprValuB_X0_I0+4+0+0+1], v[vgprValuA_X0_I0+4+0+0], a[132:135]
 // Ci += Ar*Bi
/*  mfmaIndex:36  */
/* localReadsVacancy: latencyLeft 5 */
	;; [unrolled: 16-line block ×7, first 2 shown]
v_add_f32 v141, -v[vgprValuA_X0_I0+8+0+0+1], 0     // Ai=-Ai
v_mfma_f32_16x16x4_f32 a[8+0:11+0], v[vgprValuB_X0_I0+0+0+0], v[vgprValuA_X0_I0+8+0+0], a[8:11]
 // Cr += Ar*Br
/*  mfmaIndex:57  */
/* localReadsVacancy: latencyLeft 5 */
v_mfma_f32_16x16x4_f32 a[120+0:123+0], v[vgprValuB_X0_I0+0+0+0], v[vgprValuA_X0_I0+8+0+0+1], a[120:123]
 // Ci += Ai*Br
/*  mfmaIndex:58  */
/* localReadsVacancy: latencyLeft 5 */
v_mfma_f32_16x16x4_f32 a[8+0:11+0], v[vgprValuB_X0_I0+0+0+0+1], v141, a[8:11]
 // Cr += -Ai*Bi
/*  mfmaIndex:59  */
/* localReadsVacancy: latencyLeft 5 */
v_mfma_f32_16x16x4_f32 a[120+0:123+0], v[vgprValuB_X0_I0+0+0+0+1], v[vgprValuA_X0_I0+8+0+0], a[120:123]
 // Ci += Ar*Bi
/*  mfmaIndex:60  */
/* localReadsVacancy: latencyLeft 5 */
v_mfma_f32_16x16x4_f32 a[24+0:27+0], v[vgprValuB_X0_I0+4+0+0], v[vgprValuA_X0_I0+8+0+0], a[24:27]
 // Cr += Ar*Br
/*  mfmaIndex:61  */
/* localReadsVacancy: latencyLeft 5 */
v_mfma_f32_16x16x4_f32 a[136+0:139+0], v[vgprValuB_X0_I0+4+0+0], v[vgprValuA_X0_I0+8+0+0+1], a[136:139]
 // Ci += Ai*Br
/*  mfmaIndex:62  */
/* localReadsVacancy: latencyLeft 5 */
v_mfma_f32_16x16x4_f32 a[24+0:27+0], v[vgprValuB_X0_I0+4+0+0+1], v141, a[24:27]
 // Cr += -Ai*Bi
/*  mfmaIndex:63  */
/* localReadsVacancy: latencyLeft 5 */
v_mfma_f32_16x16x4_f32 a[136+0:139+0], v[vgprValuB_X0_I0+4+0+0+1], v[vgprValuA_X0_I0+8+0+0], a[136:139]
 // Ci += Ar*Bi
/*  mfmaIndex:64  */
/* localReadsVacancy: latencyLeft 5 */
	;; [unrolled: 16-line block ×7, first 2 shown]
v_add_f32 v141, -v[vgprValuA_X0_I0+12+0+0+1], 0    // Ai=-Ai
v_mfma_f32_16x16x4_f32 a[12+0:15+0], v[vgprValuB_X0_I0+0+0+0], v[vgprValuA_X0_I0+12+0+0], a[12:15]
 // Cr += Ar*Br
/*  mfmaIndex:85  */
/* localReadsVacancy: latencyLeft 5 */
v_mfma_f32_16x16x4_f32 a[124+0:127+0], v[vgprValuB_X0_I0+0+0+0], v[vgprValuA_X0_I0+12+0+0+1], a[124:127]
 // Ci += Ai*Br
/*  mfmaIndex:86  */
/* localReadsVacancy: latencyLeft 5 */
v_mfma_f32_16x16x4_f32 a[12+0:15+0], v[vgprValuB_X0_I0+0+0+0+1], v141, a[12:15]
 // Cr += -Ai*Bi
/*  mfmaIndex:87  */
/* localReadsVacancy: latencyLeft 5 */
v_mfma_f32_16x16x4_f32 a[124+0:127+0], v[vgprValuB_X0_I0+0+0+0+1], v[vgprValuA_X0_I0+12+0+0], a[124:127]
 // Ci += Ar*Bi
/*  mfmaIndex:88  */
/* localReadsVacancy: latencyLeft 5 */
v_mfma_f32_16x16x4_f32 a[28+0:31+0], v[vgprValuB_X0_I0+4+0+0], v[vgprValuA_X0_I0+12+0+0], a[28:31]
 // Cr += Ar*Br
/*  mfmaIndex:89  */
/* localReadsVacancy: latencyLeft 5 */
v_mfma_f32_16x16x4_f32 a[140+0:143+0], v[vgprValuB_X0_I0+4+0+0], v[vgprValuA_X0_I0+12+0+0+1], a[140:143]
 // Ci += Ai*Br
/*  mfmaIndex:90  */
/* localReadsVacancy: latencyLeft 5 */
v_mfma_f32_16x16x4_f32 a[28+0:31+0], v[vgprValuB_X0_I0+4+0+0+1], v141, a[28:31]
 // Cr += -Ai*Bi
/*  mfmaIndex:91  */
/* localReadsVacancy: latencyLeft 5 */
v_mfma_f32_16x16x4_f32 a[140+0:143+0], v[vgprValuB_X0_I0+4+0+0+1], v[vgprValuA_X0_I0+12+0+0], a[140:143]
 // Ci += Ar*Bi
/*  mfmaIndex:92  */
/* localReadsVacancy: latencyLeft 5 */
	;; [unrolled: 16-line block ×6, first 2 shown]
v_mfma_f32_16x16x4_f32 a[108+0:111+0], v[vgprValuB_X0_I0+24+0+0], v[vgprValuA_X0_I0+12+0+0], a[108:111]
 // Cr += Ar*Br
/*  mfmaIndex:109  */
/* localReadsVacancy: latencyLeft 5 */
v_mfma_f32_16x16x4_f32 a[220+0:223+0], v[vgprValuB_X0_I0+24+0+0], v[vgprValuA_X0_I0+12+0+0+1], a[220:223]
 // Ci += Ai*Br
/*  mfmaIndex:110  */
/* localReadsVacancy: latencyLeft 5 */
v_mfma_f32_16x16x4_f32 a[108+0:111+0], v[vgprValuB_X0_I0+24+0+0+1], v141, a[108:111]
 // Cr += -Ai*Bi
/*  mfmaIndex:111  */
/* localReadsVacancy: latencyLeft 5 */
v_mfma_f32_16x16x4_f32 a[220+0:223+0], v[vgprValuB_X0_I0+24+0+0+1], v[vgprValuA_X0_I0+12+0+0], a[220:223]
 // Ci += Ar*Bi
/* numPrefetchIter=0 */
/* dataAtIterA=-1 numReadsIterA=1 skipReadsIterA=1 readsPerIterA=4 */
/* dataAtIterB=-1 numReadsIterB=1 skipReadsIterB=1 readsPerIterB=7 */


/* iter 1 (last unrolled loop) */

/*  grEndMfmaIndex:0, lwStartMfmaIndex:430, lwEndMfmaIndex:430  */
/*  numMfmaForLR:15, barrierMfmaIndex:432, LocalWritePerMfma:0.055 */
/*  mfmaIndex:112  */
/* localReadsVacancy: latencyLeft 5 */
s_waitcnt lgkmcnt(11)                              // lgkmcnt=0 vmcnt=-1wait for prior local read local write old=0, new=11 newLW=0 newLR=11
v_add_f32 v141, -v[vgprValuA_X0_I0+0+2+0+1], 0     // Ai=-Ai
v_mfma_f32_16x16x4_f32 a[0+0:3+0], v[vgprValuB_X0_I0+0+2+0], v[vgprValuA_X0_I0+0+2+0], a[0:3]
 // Cr += Ar*Br
/*  mfmaIndex:113  */
/* localReadsVacancy: latencyLeft 5 */
v_mfma_f32_16x16x4_f32 a[112+0:115+0], v[vgprValuB_X0_I0+0+2+0], v[vgprValuA_X0_I0+0+2+0+1], a[112:115]
 // Ci += Ai*Br
/*  mfmaIndex:114  */
/* localReadsVacancy: latencyLeft 5 */
v_mfma_f32_16x16x4_f32 a[0+0:3+0], v[vgprValuB_X0_I0+0+2+0+1], v141, a[0:3]
 // Cr += -Ai*Bi
/*  mfmaIndex:115  */
/* localReadsVacancy: latencyLeft 5 */
v_mfma_f32_16x16x4_f32 a[112+0:115+0], v[vgprValuB_X0_I0+0+2+0+1], v[vgprValuA_X0_I0+0+2+0], a[112:115]
 // Ci += Ar*Bi
/*  mfmaIndex:116  */
/* localReadsVacancy: latencyLeft 5 */
v_mfma_f32_16x16x4_f32 a[16+0:19+0], v[vgprValuB_X0_I0+4+2+0], v[vgprValuA_X0_I0+0+2+0], a[16:19]
 // Cr += Ar*Br
/*  mfmaIndex:117  */
/* localReadsVacancy: latencyLeft 5 */
v_mfma_f32_16x16x4_f32 a[128+0:131+0], v[vgprValuB_X0_I0+4+2+0], v[vgprValuA_X0_I0+0+2+0+1], a[128:131]
 // Ci += Ai*Br
/*  mfmaIndex:118  */
/* localReadsVacancy: latencyLeft 5 */
v_mfma_f32_16x16x4_f32 a[16+0:19+0], v[vgprValuB_X0_I0+4+2+0+1], v141, a[16:19]
 // Cr += -Ai*Bi
/*  mfmaIndex:119  */
/* localReadsVacancy: latencyLeft 5 */
v_mfma_f32_16x16x4_f32 a[128+0:131+0], v[vgprValuB_X0_I0+4+2+0+1], v[vgprValuA_X0_I0+0+2+0], a[128:131]
 // Ci += Ar*Bi
/*  mfmaIndex:120  */
/* localReadsVacancy: latencyLeft 5 */
	;; [unrolled: 16-line block ×7, first 2 shown]
v_add_f32 v141, -v[vgprValuA_X0_I0+4+2+0+1], 0     // Ai=-Ai
v_mfma_f32_16x16x4_f32 a[4+0:7+0], v[vgprValuB_X0_I0+0+2+0], v[vgprValuA_X0_I0+4+2+0], a[4:7]
 // Cr += Ar*Br
/*  mfmaIndex:141  */
/* localReadsVacancy: latencyLeft 5 */
v_mfma_f32_16x16x4_f32 a[116+0:119+0], v[vgprValuB_X0_I0+0+2+0], v[vgprValuA_X0_I0+4+2+0+1], a[116:119]
 // Ci += Ai*Br
/*  mfmaIndex:142  */
/* localReadsVacancy: latencyLeft 5 */
v_mfma_f32_16x16x4_f32 a[4+0:7+0], v[vgprValuB_X0_I0+0+2+0+1], v141, a[4:7]
 // Cr += -Ai*Bi
/*  mfmaIndex:143  */
/* localReadsVacancy: latencyLeft 5 */
v_mfma_f32_16x16x4_f32 a[116+0:119+0], v[vgprValuB_X0_I0+0+2+0+1], v[vgprValuA_X0_I0+4+2+0], a[116:119]
 // Ci += Ar*Bi
/*  mfmaIndex:144  */
/* localReadsVacancy: latencyLeft 5 */
v_mfma_f32_16x16x4_f32 a[20+0:23+0], v[vgprValuB_X0_I0+4+2+0], v[vgprValuA_X0_I0+4+2+0], a[20:23]
 // Cr += Ar*Br
/*  mfmaIndex:145  */
/* localReadsVacancy: latencyLeft 5 */
v_mfma_f32_16x16x4_f32 a[132+0:135+0], v[vgprValuB_X0_I0+4+2+0], v[vgprValuA_X0_I0+4+2+0+1], a[132:135]
 // Ci += Ai*Br
/*  mfmaIndex:146  */
/* localReadsVacancy: latencyLeft 5 */
v_mfma_f32_16x16x4_f32 a[20+0:23+0], v[vgprValuB_X0_I0+4+2+0+1], v141, a[20:23]
 // Cr += -Ai*Bi
/*  mfmaIndex:147  */
/* localReadsVacancy: latencyLeft 5 */
v_mfma_f32_16x16x4_f32 a[132+0:135+0], v[vgprValuB_X0_I0+4+2+0+1], v[vgprValuA_X0_I0+4+2+0], a[132:135]
 // Ci += Ar*Bi
/*  mfmaIndex:148  */
/* localReadsVacancy: latencyLeft 5 */
	;; [unrolled: 16-line block ×7, first 2 shown]
v_add_f32 v141, -v[vgprValuA_X0_I0+8+2+0+1], 0     // Ai=-Ai
v_mfma_f32_16x16x4_f32 a[8+0:11+0], v[vgprValuB_X0_I0+0+2+0], v[vgprValuA_X0_I0+8+2+0], a[8:11]
 // Cr += Ar*Br
/*  mfmaIndex:169  */
/* localReadsVacancy: latencyLeft 5 */
v_mfma_f32_16x16x4_f32 a[120+0:123+0], v[vgprValuB_X0_I0+0+2+0], v[vgprValuA_X0_I0+8+2+0+1], a[120:123]
 // Ci += Ai*Br
/*  mfmaIndex:170  */
/* localReadsVacancy: latencyLeft 5 */
v_mfma_f32_16x16x4_f32 a[8+0:11+0], v[vgprValuB_X0_I0+0+2+0+1], v141, a[8:11]
 // Cr += -Ai*Bi
/*  mfmaIndex:171  */
/* localReadsVacancy: latencyLeft 5 */
v_mfma_f32_16x16x4_f32 a[120+0:123+0], v[vgprValuB_X0_I0+0+2+0+1], v[vgprValuA_X0_I0+8+2+0], a[120:123]
 // Ci += Ar*Bi
/*  mfmaIndex:172  */
/* localReadsVacancy: latencyLeft 5 */
v_mfma_f32_16x16x4_f32 a[24+0:27+0], v[vgprValuB_X0_I0+4+2+0], v[vgprValuA_X0_I0+8+2+0], a[24:27]
 // Cr += Ar*Br
/*  mfmaIndex:173  */
/* localReadsVacancy: latencyLeft 5 */
v_mfma_f32_16x16x4_f32 a[136+0:139+0], v[vgprValuB_X0_I0+4+2+0], v[vgprValuA_X0_I0+8+2+0+1], a[136:139]
 // Ci += Ai*Br
/*  mfmaIndex:174  */
/* localReadsVacancy: latencyLeft 5 */
v_mfma_f32_16x16x4_f32 a[24+0:27+0], v[vgprValuB_X0_I0+4+2+0+1], v141, a[24:27]
 // Cr += -Ai*Bi
/*  mfmaIndex:175  */
/* localReadsVacancy: latencyLeft 5 */
v_mfma_f32_16x16x4_f32 a[136+0:139+0], v[vgprValuB_X0_I0+4+2+0+1], v[vgprValuA_X0_I0+8+2+0], a[136:139]
 // Ci += Ar*Bi
/*  mfmaIndex:176  */
/* localReadsVacancy: latencyLeft 5 */
	;; [unrolled: 16-line block ×7, first 2 shown]
v_add_f32 v141, -v[vgprValuA_X0_I0+12+2+0+1], 0    // Ai=-Ai
v_mfma_f32_16x16x4_f32 a[12+0:15+0], v[vgprValuB_X0_I0+0+2+0], v[vgprValuA_X0_I0+12+2+0], a[12:15]
 // Cr += Ar*Br
/*  mfmaIndex:197  */
/* localReadsVacancy: latencyLeft 5 */
v_mfma_f32_16x16x4_f32 a[124+0:127+0], v[vgprValuB_X0_I0+0+2+0], v[vgprValuA_X0_I0+12+2+0+1], a[124:127]
 // Ci += Ai*Br
/*  mfmaIndex:198  */
/* localReadsVacancy: latencyLeft 5 */
v_mfma_f32_16x16x4_f32 a[12+0:15+0], v[vgprValuB_X0_I0+0+2+0+1], v141, a[12:15]
 // Cr += -Ai*Bi
/*  mfmaIndex:199  */
/* localReadsVacancy: latencyLeft 5 */
v_mfma_f32_16x16x4_f32 a[124+0:127+0], v[vgprValuB_X0_I0+0+2+0+1], v[vgprValuA_X0_I0+12+2+0], a[124:127]
 // Ci += Ar*Bi
/*  mfmaIndex:200  */
/* localReadsVacancy: latencyLeft 5 */
v_mfma_f32_16x16x4_f32 a[28+0:31+0], v[vgprValuB_X0_I0+4+2+0], v[vgprValuA_X0_I0+12+2+0], a[28:31]
 // Cr += Ar*Br
/*  mfmaIndex:201  */
/* localReadsVacancy: latencyLeft 5 */
v_mfma_f32_16x16x4_f32 a[140+0:143+0], v[vgprValuB_X0_I0+4+2+0], v[vgprValuA_X0_I0+12+2+0+1], a[140:143]
 // Ci += Ai*Br
/*  mfmaIndex:202  */
/* localReadsVacancy: latencyLeft 5 */
v_mfma_f32_16x16x4_f32 a[28+0:31+0], v[vgprValuB_X0_I0+4+2+0+1], v141, a[28:31]
 // Cr += -Ai*Bi
/*  mfmaIndex:203  */
/* localReadsVacancy: latencyLeft 5 */
v_mfma_f32_16x16x4_f32 a[140+0:143+0], v[vgprValuB_X0_I0+4+2+0+1], v[vgprValuA_X0_I0+12+2+0], a[140:143]
 // Ci += Ar*Bi
/*  mfmaIndex:204  */
/* localReadsVacancy: latencyLeft 5 */
	;; [unrolled: 16-line block ×6, first 2 shown]
v_mfma_f32_16x16x4_f32 a[108+0:111+0], v[vgprValuB_X0_I0+24+2+0], v[vgprValuA_X0_I0+12+2+0], a[108:111]
 // Cr += Ar*Br
/*  mfmaIndex:221  */
/* localReadsVacancy: latencyLeft 5 */
v_mfma_f32_16x16x4_f32 a[220+0:223+0], v[vgprValuB_X0_I0+24+2+0], v[vgprValuA_X0_I0+12+2+0+1], a[220:223]
 // Ci += Ai*Br
/*  mfmaIndex:222  */
/* localReadsVacancy: latencyLeft 5 */
v_mfma_f32_16x16x4_f32 a[108+0:111+0], v[vgprValuB_X0_I0+24+2+0+1], v141, a[108:111]
 // Cr += -Ai*Bi
/*  mfmaIndex:223  */
/* localReadsVacancy: latencyLeft 5 */
v_mfma_f32_16x16x4_f32 a[220+0:223+0], v[vgprValuB_X0_I0+24+2+0+1], v[vgprValuA_X0_I0+12+2+0], a[220:223]
 // Ci += Ar*Bi
/* numPrefetchIter=0 */
/* dataAtIterA=-1 numReadsIterA=1 skipReadsIterA=1 readsPerIterA=4 */
/* dataAtIterB=-1 numReadsIterB=1 skipReadsIterB=1 readsPerIterB=7 */


/* iter 2 (last unrolled loop) */

/*  grEndMfmaIndex:0, lwStartMfmaIndex:430, lwEndMfmaIndex:430  */
/*  numMfmaForLR:15, barrierMfmaIndex:432, LocalWritePerMfma:0.055 */
/*  mfmaIndex:224  */
/* localReadsVacancy: latencyLeft 5 */
s_waitcnt lgkmcnt(0)                               // lgkmcnt=0 vmcnt=-1wait for prior local read local write old=0, new=0 newLW=0 newLR=0
v_add_f32 v141, -v[vgprValuA_X2_I0+0+0+0+1], 0     // Ai=-Ai
v_mfma_f32_16x16x4_f32 a[0+0:3+0], v[vgprValuB_X2_I0+0+0+0], v[vgprValuA_X2_I0+0+0+0], a[0:3]
 // Cr += Ar*Br
/*  mfmaIndex:225  */
/* localReadsVacancy: latencyLeft 5 */
v_mfma_f32_16x16x4_f32 a[112+0:115+0], v[vgprValuB_X2_I0+0+0+0], v[vgprValuA_X2_I0+0+0+0+1], a[112:115]
 // Ci += Ai*Br
/*  mfmaIndex:226  */
/* localReadsVacancy: latencyLeft 5 */
v_mfma_f32_16x16x4_f32 a[0+0:3+0], v[vgprValuB_X2_I0+0+0+0+1], v141, a[0:3]
 // Cr += -Ai*Bi
/*  mfmaIndex:227  */
/* localReadsVacancy: latencyLeft 5 */
v_mfma_f32_16x16x4_f32 a[112+0:115+0], v[vgprValuB_X2_I0+0+0+0+1], v[vgprValuA_X2_I0+0+0+0], a[112:115]
 // Ci += Ar*Bi
/*  mfmaIndex:228  */
/* localReadsVacancy: latencyLeft 5 */
v_mfma_f32_16x16x4_f32 a[16+0:19+0], v[vgprValuB_X2_I0+4+0+0], v[vgprValuA_X2_I0+0+0+0], a[16:19]
 // Cr += Ar*Br
/*  mfmaIndex:229  */
/* localReadsVacancy: latencyLeft 5 */
v_mfma_f32_16x16x4_f32 a[128+0:131+0], v[vgprValuB_X2_I0+4+0+0], v[vgprValuA_X2_I0+0+0+0+1], a[128:131]
 // Ci += Ai*Br
/*  mfmaIndex:230  */
/* localReadsVacancy: latencyLeft 5 */
v_mfma_f32_16x16x4_f32 a[16+0:19+0], v[vgprValuB_X2_I0+4+0+0+1], v141, a[16:19]
 // Cr += -Ai*Bi
/*  mfmaIndex:231  */
/* localReadsVacancy: latencyLeft 5 */
v_mfma_f32_16x16x4_f32 a[128+0:131+0], v[vgprValuB_X2_I0+4+0+0+1], v[vgprValuA_X2_I0+0+0+0], a[128:131]
 // Ci += Ar*Bi
/*  mfmaIndex:232  */
/* localReadsVacancy: latencyLeft 5 */
	;; [unrolled: 16-line block ×7, first 2 shown]
v_add_f32 v141, -v[vgprValuA_X2_I0+4+0+0+1], 0     // Ai=-Ai
v_mfma_f32_16x16x4_f32 a[4+0:7+0], v[vgprValuB_X2_I0+0+0+0], v[vgprValuA_X2_I0+4+0+0], a[4:7]
 // Cr += Ar*Br
/*  mfmaIndex:253  */
/* localReadsVacancy: latencyLeft 5 */
v_mfma_f32_16x16x4_f32 a[116+0:119+0], v[vgprValuB_X2_I0+0+0+0], v[vgprValuA_X2_I0+4+0+0+1], a[116:119]
 // Ci += Ai*Br
/*  mfmaIndex:254  */
/* localReadsVacancy: latencyLeft 5 */
v_mfma_f32_16x16x4_f32 a[4+0:7+0], v[vgprValuB_X2_I0+0+0+0+1], v141, a[4:7]
 // Cr += -Ai*Bi
/*  mfmaIndex:255  */
/* localReadsVacancy: latencyLeft 5 */
v_mfma_f32_16x16x4_f32 a[116+0:119+0], v[vgprValuB_X2_I0+0+0+0+1], v[vgprValuA_X2_I0+4+0+0], a[116:119]
 // Ci += Ar*Bi
/*  mfmaIndex:256  */
/* localReadsVacancy: latencyLeft 5 */
v_mfma_f32_16x16x4_f32 a[20+0:23+0], v[vgprValuB_X2_I0+4+0+0], v[vgprValuA_X2_I0+4+0+0], a[20:23]
 // Cr += Ar*Br
/*  mfmaIndex:257  */
/* localReadsVacancy: latencyLeft 5 */
v_mfma_f32_16x16x4_f32 a[132+0:135+0], v[vgprValuB_X2_I0+4+0+0], v[vgprValuA_X2_I0+4+0+0+1], a[132:135]
 // Ci += Ai*Br
/*  mfmaIndex:258  */
/* localReadsVacancy: latencyLeft 5 */
v_mfma_f32_16x16x4_f32 a[20+0:23+0], v[vgprValuB_X2_I0+4+0+0+1], v141, a[20:23]
 // Cr += -Ai*Bi
/*  mfmaIndex:259  */
/* localReadsVacancy: latencyLeft 5 */
v_mfma_f32_16x16x4_f32 a[132+0:135+0], v[vgprValuB_X2_I0+4+0+0+1], v[vgprValuA_X2_I0+4+0+0], a[132:135]
 // Ci += Ar*Bi
/*  mfmaIndex:260  */
/* localReadsVacancy: latencyLeft 5 */
	;; [unrolled: 16-line block ×7, first 2 shown]
v_add_f32 v141, -v[vgprValuA_X2_I0+8+0+0+1], 0     // Ai=-Ai
v_mfma_f32_16x16x4_f32 a[8+0:11+0], v[vgprValuB_X2_I0+0+0+0], v[vgprValuA_X2_I0+8+0+0], a[8:11]
 // Cr += Ar*Br
/*  mfmaIndex:281  */
/* localReadsVacancy: latencyLeft 5 */
v_mfma_f32_16x16x4_f32 a[120+0:123+0], v[vgprValuB_X2_I0+0+0+0], v[vgprValuA_X2_I0+8+0+0+1], a[120:123]
 // Ci += Ai*Br
/*  mfmaIndex:282  */
/* localReadsVacancy: latencyLeft 5 */
v_mfma_f32_16x16x4_f32 a[8+0:11+0], v[vgprValuB_X2_I0+0+0+0+1], v141, a[8:11]
 // Cr += -Ai*Bi
/*  mfmaIndex:283  */
/* localReadsVacancy: latencyLeft 5 */
v_mfma_f32_16x16x4_f32 a[120+0:123+0], v[vgprValuB_X2_I0+0+0+0+1], v[vgprValuA_X2_I0+8+0+0], a[120:123]
 // Ci += Ar*Bi
/*  mfmaIndex:284  */
/* localReadsVacancy: latencyLeft 5 */
v_mfma_f32_16x16x4_f32 a[24+0:27+0], v[vgprValuB_X2_I0+4+0+0], v[vgprValuA_X2_I0+8+0+0], a[24:27]
 // Cr += Ar*Br
/*  mfmaIndex:285  */
/* localReadsVacancy: latencyLeft 5 */
v_mfma_f32_16x16x4_f32 a[136+0:139+0], v[vgprValuB_X2_I0+4+0+0], v[vgprValuA_X2_I0+8+0+0+1], a[136:139]
 // Ci += Ai*Br
/*  mfmaIndex:286  */
/* localReadsVacancy: latencyLeft 5 */
v_mfma_f32_16x16x4_f32 a[24+0:27+0], v[vgprValuB_X2_I0+4+0+0+1], v141, a[24:27]
 // Cr += -Ai*Bi
/*  mfmaIndex:287  */
/* localReadsVacancy: latencyLeft 5 */
v_mfma_f32_16x16x4_f32 a[136+0:139+0], v[vgprValuB_X2_I0+4+0+0+1], v[vgprValuA_X2_I0+8+0+0], a[136:139]
 // Ci += Ar*Bi
/*  mfmaIndex:288  */
/* localReadsVacancy: latencyLeft 5 */
v_mfma_f32_16x16x4_f32 a[40+0:43+0], v[vgprValuB_X2_I0+8+0+0], v[vgprValuA_X2_I0+8+0+0], a[40:43]
 // Cr += Ar*Br
/*  mfmaIndex:289  */
/* localReadsVacancy: latencyLeft 5 */
v_mfma_f32_16x16x4_f32 a[152+0:155+0], v[vgprValuB_X2_I0+8+0+0], v[vgprValuA_X2_I0+8+0+0+1], a[152:155]
 // Ci += Ai*Br
/*  mfmaIndex:290  */
/* localReadsVacancy: latencyLeft 5 */
v_mfma_f32_16x16x4_f32 a[40+0:43+0], v[vgprValuB_X2_I0+8+0+0+1], v141, a[40:43]
 // Cr += -Ai*Bi
/*  mfmaIndex:291  */
/* localReadsVacancy: latencyLeft 5 */
v_mfma_f32_16x16x4_f32 a[152+0:155+0], v[vgprValuB_X2_I0+8+0+0+1], v[vgprValuA_X2_I0+8+0+0], a[152:155]
 // Ci += Ar*Bi
/*  mfmaIndex:292  */
/* localReadsVacancy: latencyLeft 5 */
v_mfma_f32_16x16x4_f32 a[56+0:59+0], v[vgprValuB_X2_I0+12+0+0], v[vgprValuA_X2_I0+8+0+0], a[56:59]
 // Cr += Ar*Br
/*  mfmaIndex:293  */
/* localReadsVacancy: latencyLeft 5 */
v_mfma_f32_16x16x4_f32 a[168+0:171+0], v[vgprValuB_X2_I0+12+0+0], v[vgprValuA_X2_I0+8+0+0+1], a[168:171]
 // Ci += Ai*Br
/*  mfmaIndex:294  */
/* localReadsVacancy: latencyLeft 5 */
v_mfma_f32_16x16x4_f32 a[56+0:59+0], v[vgprValuB_X2_I0+12+0+0+1], v141, a[56:59]
 // Cr += -Ai*Bi
/*  mfmaIndex:295  */
/* localReadsVacancy: latencyLeft 5 */
v_mfma_f32_16x16x4_f32 a[168+0:171+0], v[vgprValuB_X2_I0+12+0+0+1], v[vgprValuA_X2_I0+8+0+0], a[168:171]
 // Ci += Ar*Bi
/*  mfmaIndex:296  */
/* localReadsVacancy: latencyLeft 5 */
v_mfma_f32_16x16x4_f32 a[72+0:75+0], v[vgprValuB_X2_I0+16+0+0], v[vgprValuA_X2_I0+8+0+0], a[72:75]
 // Cr += Ar*Br
/*  mfmaIndex:297  */
/* localReadsVacancy: latencyLeft 5 */
v_mfma_f32_16x16x4_f32 a[184+0:187+0], v[vgprValuB_X2_I0+16+0+0], v[vgprValuA_X2_I0+8+0+0+1], a[184:187]
 // Ci += Ai*Br
/*  mfmaIndex:298  */
/* localReadsVacancy: latencyLeft 5 */
v_mfma_f32_16x16x4_f32 a[72+0:75+0], v[vgprValuB_X2_I0+16+0+0+1], v141, a[72:75]
 // Cr += -Ai*Bi
/*  mfmaIndex:299  */
/* localReadsVacancy: latencyLeft 5 */
v_mfma_f32_16x16x4_f32 a[184+0:187+0], v[vgprValuB_X2_I0+16+0+0+1], v[vgprValuA_X2_I0+8+0+0], a[184:187]
 // Ci += Ar*Bi
/*  mfmaIndex:300  */
/* localReadsVacancy: latencyLeft 5 */
v_mfma_f32_16x16x4_f32 a[88+0:91+0], v[vgprValuB_X2_I0+20+0+0], v[vgprValuA_X2_I0+8+0+0], a[88:91]
 // Cr += Ar*Br
/*  mfmaIndex:301  */
/* localReadsVacancy: latencyLeft 5 */
v_mfma_f32_16x16x4_f32 a[200+0:203+0], v[vgprValuB_X2_I0+20+0+0], v[vgprValuA_X2_I0+8+0+0+1], a[200:203]
 // Ci += Ai*Br
/*  mfmaIndex:302  */
/* localReadsVacancy: latencyLeft 5 */
v_mfma_f32_16x16x4_f32 a[88+0:91+0], v[vgprValuB_X2_I0+20+0+0+1], v141, a[88:91]
 // Cr += -Ai*Bi
/*  mfmaIndex:303  */
/* localReadsVacancy: latencyLeft 5 */
v_mfma_f32_16x16x4_f32 a[200+0:203+0], v[vgprValuB_X2_I0+20+0+0+1], v[vgprValuA_X2_I0+8+0+0], a[200:203]
 // Ci += Ar*Bi
/*  mfmaIndex:304  */
/* localReadsVacancy: latencyLeft 5 */
v_mfma_f32_16x16x4_f32 a[104+0:107+0], v[vgprValuB_X2_I0+24+0+0], v[vgprValuA_X2_I0+8+0+0], a[104:107]
 // Cr += Ar*Br
/*  mfmaIndex:305  */
/* localReadsVacancy: latencyLeft 5 */
v_mfma_f32_16x16x4_f32 a[216+0:219+0], v[vgprValuB_X2_I0+24+0+0], v[vgprValuA_X2_I0+8+0+0+1], a[216:219]
 // Ci += Ai*Br
/*  mfmaIndex:306  */
/* localReadsVacancy: latencyLeft 5 */
v_mfma_f32_16x16x4_f32 a[104+0:107+0], v[vgprValuB_X2_I0+24+0+0+1], v141, a[104:107]
 // Cr += -Ai*Bi
/*  mfmaIndex:307  */
/* localReadsVacancy: latencyLeft 5 */
v_mfma_f32_16x16x4_f32 a[216+0:219+0], v[vgprValuB_X2_I0+24+0+0+1], v[vgprValuA_X2_I0+8+0+0], a[216:219]
 // Ci += Ar*Bi
/*  mfmaIndex:308  */
/* localReadsVacancy: latencyLeft 5 */
v_add_f32 v141, -v[vgprValuA_X2_I0+12+0+0+1], 0    // Ai=-Ai
v_mfma_f32_16x16x4_f32 a[12+0:15+0], v[vgprValuB_X2_I0+0+0+0], v[vgprValuA_X2_I0+12+0+0], a[12:15]
 // Cr += Ar*Br
/*  mfmaIndex:309  */
/* localReadsVacancy: latencyLeft 5 */
v_mfma_f32_16x16x4_f32 a[124+0:127+0], v[vgprValuB_X2_I0+0+0+0], v[vgprValuA_X2_I0+12+0+0+1], a[124:127]
 // Ci += Ai*Br
/*  mfmaIndex:310  */
/* localReadsVacancy: latencyLeft 5 */
v_mfma_f32_16x16x4_f32 a[12+0:15+0], v[vgprValuB_X2_I0+0+0+0+1], v141, a[12:15]
 // Cr += -Ai*Bi
/*  mfmaIndex:311  */
/* localReadsVacancy: latencyLeft 5 */
v_mfma_f32_16x16x4_f32 a[124+0:127+0], v[vgprValuB_X2_I0+0+0+0+1], v[vgprValuA_X2_I0+12+0+0], a[124:127]
 // Ci += Ar*Bi
/*  mfmaIndex:312  */
/* localReadsVacancy: latencyLeft 5 */
v_mfma_f32_16x16x4_f32 a[28+0:31+0], v[vgprValuB_X2_I0+4+0+0], v[vgprValuA_X2_I0+12+0+0], a[28:31]
 // Cr += Ar*Br
/*  mfmaIndex:313  */
/* localReadsVacancy: latencyLeft 5 */
v_mfma_f32_16x16x4_f32 a[140+0:143+0], v[vgprValuB_X2_I0+4+0+0], v[vgprValuA_X2_I0+12+0+0+1], a[140:143]
 // Ci += Ai*Br
/*  mfmaIndex:314  */
/* localReadsVacancy: latencyLeft 5 */
v_mfma_f32_16x16x4_f32 a[28+0:31+0], v[vgprValuB_X2_I0+4+0+0+1], v141, a[28:31]
 // Cr += -Ai*Bi
/*  mfmaIndex:315  */
/* localReadsVacancy: latencyLeft 5 */
v_mfma_f32_16x16x4_f32 a[140+0:143+0], v[vgprValuB_X2_I0+4+0+0+1], v[vgprValuA_X2_I0+12+0+0], a[140:143]
 // Ci += Ar*Bi
/*  mfmaIndex:316  */
/* localReadsVacancy: latencyLeft 5 */
	;; [unrolled: 16-line block ×6, first 2 shown]
v_mfma_f32_16x16x4_f32 a[108+0:111+0], v[vgprValuB_X2_I0+24+0+0], v[vgprValuA_X2_I0+12+0+0], a[108:111]
 // Cr += Ar*Br
/*  mfmaIndex:333  */
/* localReadsVacancy: latencyLeft 5 */
v_mfma_f32_16x16x4_f32 a[220+0:223+0], v[vgprValuB_X2_I0+24+0+0], v[vgprValuA_X2_I0+12+0+0+1], a[220:223]
 // Ci += Ai*Br
/*  mfmaIndex:334  */
/* localReadsVacancy: latencyLeft 5 */
v_mfma_f32_16x16x4_f32 a[108+0:111+0], v[vgprValuB_X2_I0+24+0+0+1], v141, a[108:111]
 // Cr += -Ai*Bi
/*  mfmaIndex:335  */
/* localReadsVacancy: latencyLeft 5 */
v_mfma_f32_16x16x4_f32 a[220+0:223+0], v[vgprValuB_X2_I0+24+0+0+1], v[vgprValuA_X2_I0+12+0+0], a[220:223]
 // Ci += Ar*Bi
/* numPrefetchIter=0 */
/* dataAtIterA=0 numReadsIterA=1 skipReadsIterA=0 readsPerIterA=4 */
/* dataAtIterB=0 numReadsIterB=1 skipReadsIterB=0 readsPerIterB=7 */


/* iter 3 (last unrolled loop) */

/*  grEndMfmaIndex:0, lwStartMfmaIndex:430, lwEndMfmaIndex:430  */
/*  numMfmaForLR:15, barrierMfmaIndex:432, LocalWritePerMfma:0.055 */
/*  mfmaIndex:336  */
s_waitcnt lgkmcnt(0)                               // lgkmcnt=0 vmcnt=-1wait for prior local read local write old=0, new=0 newLW=0 newLR=0
v_add_f32 v141, -v[vgprValuA_X2_I0+0+2+0+1], 0     // Ai=-Ai
v_mfma_f32_16x16x4_f32 a[0+0:3+0], v[vgprValuB_X2_I0+0+2+0], v[vgprValuA_X2_I0+0+2+0], a[0:3]
 // Cr += Ar*Br
/*  mfmaIndex:337  */
v_mfma_f32_16x16x4_f32 a[112+0:115+0], v[vgprValuB_X2_I0+0+2+0], v[vgprValuA_X2_I0+0+2+0+1], a[112:115]
 // Ci += Ai*Br
/*  mfmaIndex:338  */
v_mfma_f32_16x16x4_f32 a[0+0:3+0], v[vgprValuB_X2_I0+0+2+0+1], v141, a[0:3]
 // Cr += -Ai*Bi
/*  mfmaIndex:339  */
v_mfma_f32_16x16x4_f32 a[112+0:115+0], v[vgprValuB_X2_I0+0+2+0+1], v[vgprValuA_X2_I0+0+2+0], a[112:115]
 // Ci += Ar*Bi
/*  mfmaIndex:340  */
v_mfma_f32_16x16x4_f32 a[16+0:19+0], v[vgprValuB_X2_I0+4+2+0], v[vgprValuA_X2_I0+0+2+0], a[16:19]
 // Cr += Ar*Br
/*  mfmaIndex:341  */
v_mfma_f32_16x16x4_f32 a[128+0:131+0], v[vgprValuB_X2_I0+4+2+0], v[vgprValuA_X2_I0+0+2+0+1], a[128:131]
 // Ci += Ai*Br
/*  mfmaIndex:342  */
v_mfma_f32_16x16x4_f32 a[16+0:19+0], v[vgprValuB_X2_I0+4+2+0+1], v141, a[16:19]
 // Cr += -Ai*Bi
/*  mfmaIndex:343  */
v_mfma_f32_16x16x4_f32 a[128+0:131+0], v[vgprValuB_X2_I0+4+2+0+1], v[vgprValuA_X2_I0+0+2+0], a[128:131]
 // Ci += Ar*Bi
/*  mfmaIndex:344  */
	;; [unrolled: 12-line block ×7, first 2 shown]
v_add_f32 v141, -v[vgprValuA_X2_I0+4+2+0+1], 0     // Ai=-Ai
v_mfma_f32_16x16x4_f32 a[4+0:7+0], v[vgprValuB_X2_I0+0+2+0], v[vgprValuA_X2_I0+4+2+0], a[4:7]
 // Cr += Ar*Br
/*  mfmaIndex:365  */
v_mfma_f32_16x16x4_f32 a[116+0:119+0], v[vgprValuB_X2_I0+0+2+0], v[vgprValuA_X2_I0+4+2+0+1], a[116:119]
 // Ci += Ai*Br
/*  mfmaIndex:366  */
v_mfma_f32_16x16x4_f32 a[4+0:7+0], v[vgprValuB_X2_I0+0+2+0+1], v141, a[4:7]
 // Cr += -Ai*Bi
/*  mfmaIndex:367  */
v_mfma_f32_16x16x4_f32 a[116+0:119+0], v[vgprValuB_X2_I0+0+2+0+1], v[vgprValuA_X2_I0+4+2+0], a[116:119]
 // Ci += Ar*Bi
/*  mfmaIndex:368  */
v_mfma_f32_16x16x4_f32 a[20+0:23+0], v[vgprValuB_X2_I0+4+2+0], v[vgprValuA_X2_I0+4+2+0], a[20:23]
 // Cr += Ar*Br
/*  mfmaIndex:369  */
v_mfma_f32_16x16x4_f32 a[132+0:135+0], v[vgprValuB_X2_I0+4+2+0], v[vgprValuA_X2_I0+4+2+0+1], a[132:135]
 // Ci += Ai*Br
/*  mfmaIndex:370  */
v_mfma_f32_16x16x4_f32 a[20+0:23+0], v[vgprValuB_X2_I0+4+2+0+1], v141, a[20:23]
 // Cr += -Ai*Bi
/*  mfmaIndex:371  */
v_mfma_f32_16x16x4_f32 a[132+0:135+0], v[vgprValuB_X2_I0+4+2+0+1], v[vgprValuA_X2_I0+4+2+0], a[132:135]
 // Ci += Ar*Bi
/*  mfmaIndex:372  */
	;; [unrolled: 12-line block ×7, first 2 shown]
v_add_f32 v141, -v[vgprValuA_X2_I0+8+2+0+1], 0     // Ai=-Ai
v_mfma_f32_16x16x4_f32 a[8+0:11+0], v[vgprValuB_X2_I0+0+2+0], v[vgprValuA_X2_I0+8+2+0], a[8:11]
 // Cr += Ar*Br
/*  mfmaIndex:393  */
v_mfma_f32_16x16x4_f32 a[120+0:123+0], v[vgprValuB_X2_I0+0+2+0], v[vgprValuA_X2_I0+8+2+0+1], a[120:123]
 // Ci += Ai*Br
/*  mfmaIndex:394  */
v_mfma_f32_16x16x4_f32 a[8+0:11+0], v[vgprValuB_X2_I0+0+2+0+1], v141, a[8:11]
 // Cr += -Ai*Bi
/*  mfmaIndex:395  */
v_mfma_f32_16x16x4_f32 a[120+0:123+0], v[vgprValuB_X2_I0+0+2+0+1], v[vgprValuA_X2_I0+8+2+0], a[120:123]
 // Ci += Ar*Bi
/*  mfmaIndex:396  */
v_mfma_f32_16x16x4_f32 a[24+0:27+0], v[vgprValuB_X2_I0+4+2+0], v[vgprValuA_X2_I0+8+2+0], a[24:27]
 // Cr += Ar*Br
/*  mfmaIndex:397  */
v_mfma_f32_16x16x4_f32 a[136+0:139+0], v[vgprValuB_X2_I0+4+2+0], v[vgprValuA_X2_I0+8+2+0+1], a[136:139]
 // Ci += Ai*Br
/*  mfmaIndex:398  */
v_mfma_f32_16x16x4_f32 a[24+0:27+0], v[vgprValuB_X2_I0+4+2+0+1], v141, a[24:27]
 // Cr += -Ai*Bi
/*  mfmaIndex:399  */
v_mfma_f32_16x16x4_f32 a[136+0:139+0], v[vgprValuB_X2_I0+4+2+0+1], v[vgprValuA_X2_I0+8+2+0], a[136:139]
 // Ci += Ar*Bi
/*  mfmaIndex:400  */
	;; [unrolled: 12-line block ×7, first 2 shown]
v_add_f32 v141, -v[vgprValuA_X2_I0+12+2+0+1], 0    // Ai=-Ai
v_mfma_f32_16x16x4_f32 a[12+0:15+0], v[vgprValuB_X2_I0+0+2+0], v[vgprValuA_X2_I0+12+2+0], a[12:15]
 // Cr += Ar*Br
/*  mfmaIndex:421  */
v_mfma_f32_16x16x4_f32 a[124+0:127+0], v[vgprValuB_X2_I0+0+2+0], v[vgprValuA_X2_I0+12+2+0+1], a[124:127]
 // Ci += Ai*Br
/*  mfmaIndex:422  */
v_mfma_f32_16x16x4_f32 a[12+0:15+0], v[vgprValuB_X2_I0+0+2+0+1], v141, a[12:15]
 // Cr += -Ai*Bi
/*  mfmaIndex:423  */
v_mfma_f32_16x16x4_f32 a[124+0:127+0], v[vgprValuB_X2_I0+0+2+0+1], v[vgprValuA_X2_I0+12+2+0], a[124:127]
 // Ci += Ar*Bi
/*  mfmaIndex:424  */
v_mfma_f32_16x16x4_f32 a[28+0:31+0], v[vgprValuB_X2_I0+4+2+0], v[vgprValuA_X2_I0+12+2+0], a[28:31]
 // Cr += Ar*Br
/*  mfmaIndex:425  */
v_mfma_f32_16x16x4_f32 a[140+0:143+0], v[vgprValuB_X2_I0+4+2+0], v[vgprValuA_X2_I0+12+2+0+1], a[140:143]
 // Ci += Ai*Br
/*  mfmaIndex:426  */
v_mfma_f32_16x16x4_f32 a[28+0:31+0], v[vgprValuB_X2_I0+4+2+0+1], v141, a[28:31]
 // Cr += -Ai*Bi
/*  mfmaIndex:427  */
v_mfma_f32_16x16x4_f32 a[140+0:143+0], v[vgprValuB_X2_I0+4+2+0+1], v[vgprValuA_X2_I0+12+2+0], a[140:143]
 // Ci += Ar*Bi
/*  mfmaIndex:428  */
v_mfma_f32_16x16x4_f32 a[44+0:47+0], v[vgprValuB_X2_I0+8+2+0], v[vgprValuA_X2_I0+12+2+0], a[44:47]
 // Cr += Ar*Br
/*  mfmaIndex:429  */
/* 1 LDS buffer: read-sync-write */
s_waitcnt lgkmcnt(0)                               // 
s_barrier                                          // 
v_mfma_f32_16x16x4_f32 a[156+0:159+0], v[vgprValuB_X2_I0+8+2+0], v[vgprValuA_X2_I0+12+2+0+1], a[156:159]
 // Ci += Ai*Br
/*  mfmaIndex:430  */
s_setprio 3                                        // store optimization
v_mfma_f32_16x16x4_f32 a[44+0:47+0], v[vgprValuB_X2_I0+8+2+0+1], v141, a[44:47]
 // Cr += -Ai*Bi
/*  mfmaIndex:431  */
v_mfma_f32_16x16x4_f32 a[156+0:159+0], v[vgprValuB_X2_I0+8+2+0+1], v[vgprValuA_X2_I0+12+2+0], a[156:159]
 // Ci += Ar*Bi
s_setprio 0                                        // store optimization
/*  mfmaIndex:432  */
v_mfma_f32_16x16x4_f32 a[60+0:63+0], v[vgprValuB_X2_I0+12+2+0], v[vgprValuA_X2_I0+12+2+0], a[60:63]
 // Cr += Ar*Br
/*  mfmaIndex:433  */
s_setprio 3                                        // store optimization
v_mfma_f32_16x16x4_f32 a[172+0:175+0], v[vgprValuB_X2_I0+12+2+0], v[vgprValuA_X2_I0+12+2+0+1], a[172:175]
 // Ci += Ai*Br
/*  mfmaIndex:434  */
v_mfma_f32_16x16x4_f32 a[60+0:63+0], v[vgprValuB_X2_I0+12+2+0+1], v141, a[60:63]
 // Cr += -Ai*Bi
/*  mfmaIndex:435  */
v_mfma_f32_16x16x4_f32 a[172+0:175+0], v[vgprValuB_X2_I0+12+2+0+1], v[vgprValuA_X2_I0+12+2+0], a[172:175]
 // Ci += Ar*Bi
/*  mfmaIndex:436  */
v_mfma_f32_16x16x4_f32 a[76+0:79+0], v[vgprValuB_X2_I0+16+2+0], v[vgprValuA_X2_I0+12+2+0], a[76:79]
 // Cr += Ar*Br
/*  mfmaIndex:437  */
v_mfma_f32_16x16x4_f32 a[188+0:191+0], v[vgprValuB_X2_I0+16+2+0], v[vgprValuA_X2_I0+12+2+0+1], a[188:191]
 // Ci += Ai*Br
/*  mfmaIndex:438  */
v_mfma_f32_16x16x4_f32 a[76+0:79+0], v[vgprValuB_X2_I0+16+2+0+1], v141, a[76:79]
 // Cr += -Ai*Bi
/*  mfmaIndex:439  */
v_mfma_f32_16x16x4_f32 a[188+0:191+0], v[vgprValuB_X2_I0+16+2+0+1], v[vgprValuA_X2_I0+12+2+0], a[188:191]
 // Ci += Ar*Bi
/*  mfmaIndex:440  */
v_mfma_f32_16x16x4_f32 a[92+0:95+0], v[vgprValuB_X2_I0+20+2+0], v[vgprValuA_X2_I0+12+2+0], a[92:95]
 // Cr += Ar*Br
/*  mfmaIndex:441  */
	;; [unrolled: 12-line block ×3, first 2 shown]
v_mfma_f32_16x16x4_f32 a[220+0:223+0], v[vgprValuB_X2_I0+24+2+0], v[vgprValuA_X2_I0+12+2+0+1], a[220:223]
 // Ci += Ai*Br
/*  mfmaIndex:446  */
v_mfma_f32_16x16x4_f32 a[108+0:111+0], v[vgprValuB_X2_I0+24+2+0+1], v141, a[108:111]
 // Cr += -Ai*Bi
/*  mfmaIndex:447  */
v_mfma_f32_16x16x4_f32 a[220+0:223+0], v[vgprValuB_X2_I0+24+2+0+1], v[vgprValuA_X2_I0+12+2+0], a[220:223]
 // Ci += Ar*Bi
/* numPrefetchIter=0 */
/* dataAtIterA=0 numReadsIterA=1 skipReadsIterA=0 readsPerIterA=4 */
/* dataAtIterB=0 numReadsIterB=1 skipReadsIterB=0 readsPerIterB=7 */

PrefetchGlobalLastIterEnd_5:


/******************************************/
/* Tail Loop                              */
/******************************************/


/* local write reset offsets a */


	;; [unrolled: 1-line block ×4, first 2 shown]
/* local write reset offsets b */


	;; [unrolled: 1-line block ×4, first 2 shown]
//numIterL = (((sizeL % LOCAL_DEPTHU) + LOCAL_SPLITU - 1) / LOCAL_SPLITU)
s_and_b32 s[sgprLoopCounterL], 15, s[sgprSizesSum+0] // s[sgprLoopCounterL] = s[sgprSizesSum+0] % 16
s_cmp_eq_u32 s[sgprLoopCounterL], 0x0              // numIterL == 0
s_cbranch_scc1 SkipTailLoopL_8                     // skip to end of tail loop b/c numIter==0
s_mov_b32 s[sgprOrigLoopCounter], 0                // repurpose to count each localRead increment


/* remove stagger offsets for tail loop */

s_mov_b32 s84, 3                                   // 
s_mul_hi_u32 s83, s84, s[sgprGlobalReadIncsA+0]    // 3 * GlobalReadIncs
s_mul_i32 s82, s84, s[sgprGlobalReadIncsA+0]       // 3 * GlobalReadIncs
s_mul_hi_u32 s85, s[sgprStaggerUIter], s[sgprGlobalReadIncsA+0] // StaggerUIter * GlobalReadIncs
s_mul_i32 s84, s[sgprStaggerUIter], s[sgprGlobalReadIncsA+0] // StaggerUIter * GlobalReadIncs
s_sub_u32 s82, s82, s84                            // start offset S in bytes
s_subb_u32 s83, s83, s85                           // start offset S in bytes
s_sub_u32 s82, s82, s[sgprWrapUA]                  // S - WrapU
s_subb_u32 s83, s83, s[sgprWrapUA+1]               // S - WrapU
s_add_u32 s[sgprSrdA+0], s[sgprSrdA+0], s82        // gra SRD += inc(lower)
s_addc_u32  s[sgprSrdA+1], s[sgprSrdA+1], s83      // gra SRD += inc(upper)
s_sub_u32 s[sgprShadowLimitA+0], s[sgprShadowLimitA+0], s82 // limit -= inc)
s_subb_u32 s[sgprShadowLimitA+1], s[sgprShadowLimitA+1], s83 // limit -= inc)
s_cmp_eq_u32 s[sgprShadowLimitA+1], 0              // are we within 2^32?
s_cselect_b32 s[sgprSrdA+2], s[sgprShadowLimitA+0], BufferLimitA // Move shadow to real if we are within 2^32

s_mov_b32 s84, 3                                   // 
s_mul_hi_u32 s83, s84, s[sgprGlobalReadIncsB+0]    // 3 * GlobalReadIncs
s_mul_i32 s82, s84, s[sgprGlobalReadIncsB+0]       // 3 * GlobalReadIncs
s_mul_hi_u32 s85, s[sgprStaggerUIter], s[sgprGlobalReadIncsB+0] // StaggerUIter * GlobalReadIncs
s_mul_i32 s84, s[sgprStaggerUIter], s[sgprGlobalReadIncsB+0] // StaggerUIter * GlobalReadIncs
s_sub_u32 s82, s82, s84                            // start offset S in bytes
s_subb_u32 s83, s83, s85                           // start offset S in bytes
s_sub_u32 s82, s82, s[sgprWrapUB]                  // S - WrapU
s_subb_u32 s83, s83, s[sgprWrapUB+1]               // S - WrapU
s_add_u32 s[sgprSrdB+0], s[sgprSrdB+0], s82        // gra SRD += inc(lower)
s_addc_u32  s[sgprSrdB+1], s[sgprSrdB+1], s83      // gra SRD += inc(upper)
s_sub_u32 s[sgprShadowLimitB+0], s[sgprShadowLimitB+0], s82 // limit -= inc)
s_subb_u32 s[sgprShadowLimitB+1], s[sgprShadowLimitB+1], s83 // limit -= inc)
s_cmp_eq_u32 s[sgprShadowLimitB+1], 0              // are we within 2^32?
s_cselect_b32 s[sgprSrdB+2], s[sgprShadowLimitB+0], BufferLimitB // Move shadow to real if we are within 2^32


/* Update M0 for DTLDS */


	;; [unrolled: 1-line block ×3, first 2 shown]
/* global read a */

/* g2l=0, load component 0 */
_buffer_load_b64 v[vgprG2LA+0+0:vgprG2LA+0+0+1], v[vgprGlobalReadOffsetA+0], s[sgprSrdA:sgprSrdA+3], 0, offen offset:0 // load one buffer value
/* g2l=2, load component 0 */
_buffer_load_b64 v[vgprG2LA+2+0:vgprG2LA+2+0+1], v[vgprGlobalReadOffsetA+0], s[sgprSrdA:sgprSrdA+3], s[sgprScalarGlobalReadOffsetA+0], offen offset:0 // load one buffer value
/* g2l=4, load component 0 */
_buffer_load_b64 v[vgprG2LA+4+0:vgprG2LA+4+0+1], v[vgprGlobalReadOffsetA+0], s[sgprSrdA:sgprSrdA+3], s[sgprScalarGlobalReadOffsetA+1], offen offset:0 // load one buffer value
	;; [unrolled: 2-line block ×15, first 2 shown]


/* Update M0 for DTLDS */


	;; [unrolled: 1-line block ×3, first 2 shown]
/* global read b */

/* g2l=0, load component 0 */
_buffer_load_b64 v[vgprG2LB+0+0:vgprG2LB+0+0+1], v[vgprGlobalReadOffsetB+0], s[sgprSrdB:sgprSrdB+3], 0, offen offset:0 // load one buffer value
/* g2l=2, load component 0 */
_buffer_load_b64 v[vgprG2LB+2+0:vgprG2LB+2+0+1], v[vgprGlobalReadOffsetB+0], s[sgprSrdB:sgprSrdB+3], s[sgprScalarGlobalReadOffsetB+0], offen offset:0 // load one buffer value
/* g2l=4, load component 0 */
_buffer_load_b64 v[vgprG2LB+4+0:vgprG2LB+4+0+1], v[vgprGlobalReadOffsetB+0], s[sgprSrdB:sgprSrdB+3], s[sgprScalarGlobalReadOffsetB+1], offen offset:0 // load one buffer value
	;; [unrolled: 2-line block ×6, first 2 shown]

s_waitcnt vmcnt(0)                                 // lgkmcnt=-1 vmcnt=02wait for global read

// Skip force waitcnt0
s_barrier //


/* Done global A/B reads */


	;; [unrolled: 1-line block ×4, first 2 shown]
/* local write a */

_ds_store_b64 v[vgprLocalWriteAddrA], v[vgprG2LA+0:vgprG2LA+0+1] offset:0 // lwoA_0_0_0_0 = (0*LSCA)*(MT0I+PAD) + (0*LSPA) = 0
_ds_store_b64 v[vgprLocalWriteAddrA], v[vgprG2LA+2:vgprG2LA+2+1] offset:2304 // lwoA_0_0_1_0 = (0*LSCA)*(MT0I+PAD) + (1*LSPA) = 2304
_ds_store_b64 v[vgprLocalWriteAddrA], v[vgprG2LA+4:vgprG2LA+4+1] offset:4608 // lwoA_0_0_2_0 = (0*LSCA)*(MT0I+PAD) + (2*LSPA) = 4608
_ds_store_b64 v[vgprLocalWriteAddrA], v[vgprG2LA+6:vgprG2LA+6+1] offset:6912 // lwoA_0_0_3_0 = (0*LSCA)*(MT0I+PAD) + (3*LSPA) = 6912
_ds_store_b64 v[vgprLocalWriteAddrA], v[vgprG2LA+8:vgprG2LA+8+1] offset:9216 // lwoA_0_0_4_0 = (0*LSCA)*(MT0I+PAD) + (4*LSPA) = 9216
_ds_store_b64 v[vgprLocalWriteAddrA], v[vgprG2LA+10:vgprG2LA+10+1] offset:11520 // lwoA_0_0_5_0 = (0*LSCA)*(MT0I+PAD) + (5*LSPA) = 11520
_ds_store_b64 v[vgprLocalWriteAddrA], v[vgprG2LA+12:vgprG2LA+12+1] offset:13824 // lwoA_0_0_6_0 = (0*LSCA)*(MT0I+PAD) + (6*LSPA) = 13824
_ds_store_b64 v[vgprLocalWriteAddrA], v[vgprG2LA+14:vgprG2LA+14+1] offset:16128 // lwoA_0_0_7_0 = (0*LSCA)*(MT0I+PAD) + (7*LSPA) = 16128
_ds_store_b64 v[vgprLocalWriteAddrA], v[vgprG2LA+16:vgprG2LA+16+1] offset:18432 // lwoA_0_0_8_0 = (0*LSCA)*(MT0I+PAD) + (8*LSPA) = 18432
_ds_store_b64 v[vgprLocalWriteAddrA], v[vgprG2LA+18:vgprG2LA+18+1] offset:20736 // lwoA_0_0_9_0 = (0*LSCA)*(MT0I+PAD) + (9*LSPA) = 20736
_ds_store_b64 v[vgprLocalWriteAddrA], v[vgprG2LA+20:vgprG2LA+20+1] offset:23040 // lwoA_0_0_10_0 = (0*LSCA)*(MT0I+PAD) + (10*LSPA) = 23040
_ds_store_b64 v[vgprLocalWriteAddrA], v[vgprG2LA+22:vgprG2LA+22+1] offset:25344 // lwoA_0_0_11_0 = (0*LSCA)*(MT0I+PAD) + (11*LSPA) = 25344
_ds_store_b64 v[vgprLocalWriteAddrA], v[vgprG2LA+24:vgprG2LA+24+1] offset:27648 // lwoA_0_0_12_0 = (0*LSCA)*(MT0I+PAD) + (12*LSPA) = 27648
_ds_store_b64 v[vgprLocalWriteAddrA], v[vgprG2LA+26:vgprG2LA+26+1] offset:29952 // lwoA_0_0_13_0 = (0*LSCA)*(MT0I+PAD) + (13*LSPA) = 29952
_ds_store_b64 v[vgprLocalWriteAddrA], v[vgprG2LA+28:vgprG2LA+28+1] offset:32256 // lwoA_0_0_14_0 = (0*LSCA)*(MT0I+PAD) + (14*LSPA) = 32256
_ds_store_b64 v[vgprLocalWriteAddrA], v[vgprG2LA+30:vgprG2LA+30+1] offset:34560 // lwoA_0_0_15_0 = (0*LSCA)*(MT0I+PAD) + (15*LSPA) = 34560


/* local write b */

_ds_store_b64 v[vgprLocalWriteAddrB], v[vgprG2LB+0:vgprG2LB+0+1] offset:0 // lwoB_0_0_0_0 = (0*LSCB)*(MT1J+PAD) + (0*LSPB) = 0
_ds_store_b64 v[vgprLocalWriteAddrB], v[vgprG2LB+2:vgprG2LB+2+1] offset:2560 // lwoB_0_0_1_0 = (0*LSCB)*(MT1J+PAD) + (1*LSPB) = 2560
_ds_store_b64 v[vgprLocalWriteAddrB], v[vgprG2LB+4:vgprG2LB+4+1] offset:5120 // lwoB_0_0_2_0 = (0*LSCB)*(MT1J+PAD) + (2*LSPB) = 5120
_ds_store_b64 v[vgprLocalWriteAddrB], v[vgprG2LB+6:vgprG2LB+6+1] offset:7680 // lwoB_0_0_3_0 = (0*LSCB)*(MT1J+PAD) + (3*LSPB) = 7680
_ds_store_b64 v[vgprLocalWriteAddrB], v[vgprG2LB+8:vgprG2LB+8+1] offset:10240 // lwoB_0_0_4_0 = (0*LSCB)*(MT1J+PAD) + (4*LSPB) = 10240
_ds_store_b64 v[vgprLocalWriteAddrB], v[vgprG2LB+10:vgprG2LB+10+1] offset:12800 // lwoB_0_0_5_0 = (0*LSCB)*(MT1J+PAD) + (5*LSPB) = 12800
_ds_store_b64 v[vgprLocalWriteAddrB], v[vgprG2LB+12:vgprG2LB+12+1] offset:15360 // lwoB_0_0_6_0 = (0*LSCB)*(MT1J+PAD) + (6*LSPB) = 15360


/* Recalc local read offsets */

/*lr0I*/
v_and_b32 v142, 63, v[vgprSerial]                  // 0. thread id in wave: wtid = tid % wavelength(64)
v_and_b32 v141, 15, v142                           // 1. N offset: nIdx = wtid % MI_N(16)
v_lshlrev_b32 v141, 0x4, v141                      // 1. N offset: nOffset = nIdx * nStride(16)
                                                   // 2. block offset: bnIdx = bnIdx % num1DBlocks(1) is 0. do nothing
v_lshlrev_b32 v141, 0x1, v141                      // 4. apply VectorWidth: bnOffset = bnOffset * vw(2)
v_lshrrev_b32 v142, 4, v142                        // 5. K offset: kIdx = wtid / (MIN(16) * MIBB(1))
                                                   // 5. K offset: lrKOffset = kIdx * mStride(1) (multiplier is 1, do nothing)
_v_add_u32 v141, v142, v141                        // 6. offset in wave: lrOffset = bnOffset + lrKOffset
v_lshrrev_b32 v143, 6, v[vgprSerial]               // 7. wave offset in N dimen: wtid = tid / dividedForWaveId(64)
v_and_b32 v142, 3, v143                            // 7. wave offset in M dimen: wtid0 = wtid / num1DWaves(4)
v_lshlrev_b32 v142, 0x9, v142                      // 7. wave offset in M dimen: wOffset = wtid0 * W0Stride(512)
_v_add_u32 v141, v142, v141                        // 8. final local read offset: flrOffset = lrOffset + WOffset
/*lr1J*/
v_and_b32 v143, 63, v[vgprSerial]                  // 0. thread id in wave: wtid = tid % wavelength(64)
v_and_b32 v142, 15, v143                           // 1. N offset: nIdx = wtid % MI_N(16)
v_lshlrev_b32 v142, 0x4, v142                      // 1. N offset: nOffset = nIdx * nStride(16)
                                                   // 2. block offset: bnIdx = bnIdx % num1DBlocks(1) is 0. do nothing
                                                   // 4. apply VectorWidth: bnOffset = bnOffset * vw(1) (multiplier is 1, do nothing)
v_lshrrev_b32 v143, 4, v143                        // 5. K offset: kIdx = wtid / (MIN(16) * MIBB(1))
                                                   // 5. K offset: lrKOffset = kIdx * mStride(1) (multiplier is 1, do nothing)
_v_add_u32 v142, v143, v142                        // 6. offset in wave: lrOffset = bnOffset + lrKOffset
v_lshlrev_b32 v[vgprLocalReadAddrA], 0x3, v141     // Final Offset: offset = (lro0)*bpe
v_lshrrev_b32 v141, 8, v[vgprLocalReadAddrA]       // Final Offset: padding 4 per block 256
v_lshlrev_b32 v141, 0x5, v141                      // Final Offset: padding 4 per block 256
_v_add_u32 v[vgprLocalReadAddrA], v141, v[vgprLocalReadAddrA] // Final Offset: add padding 4 per block 256
/* N/A */
v_lshlrev_b32 v[vgprLocalReadAddrB], 0x3, v142     // Final Offset: offset = (lro1)*bpe
v_lshrrev_b32 v141, 7, v[vgprLocalReadAddrB]       // Final Offset: padding 4 per block 128
v_lshlrev_b32 v141, 0x5, v141                      // Final Offset: padding 4 per block 128
_v_add_u32 v[vgprLocalReadAddrB], v141, v[vgprLocalReadAddrB] // Final Offset: add padding 4 per block 128
_v_add_co_u32 v[vgprLocalReadAddrB+0], vcc, 0x9000, v[vgprLocalReadAddrB+0] //  += LdsOffsetB (lower)

s_waitcnt lgkmcnt(0)                               // lgkmcnt=0 vmcnt=-15wait for local write

// Skip force waitcnt0
s_barrier //


/* local read reset offsets a */


	;; [unrolled: 1-line block ×3, first 2 shown]
/* local read reset offsets b */


	;; [unrolled: 1-line block ×3, first 2 shown]
/* local read init pointers a */


/* localReadInitPointers */


/* local read init pointers b */


/* localReadInitPointers */


/* tail loop: macs */

TailLoopBeginL_6:


/* tail loop unroll iter 0 */


/* local read a */

_ds_load_b64 v[vgprValuA_X0_I0+0:vgprValuA_X0_I0+0+1], v[vgprLocalReadAddrA] offset:0 // L -> Reg lro=0 swapByteOffset=0 ti=128 vIdx=0 rIdx=0 oIdx=0 buffer=0 iui=0
_ds_load_b64 v[vgprValuA_X0_I0+2:vgprValuA_X0_I0+2+1], v[vgprLocalReadAddrA] offset:128 // L -> Reg lro=0 swapByteOffset=0 ti=128 vIdx=0 rIdx=0 oIdx=0 buffer=0 iui=0
	;; [unrolled: 1-line block ×4, first 2 shown]


/* local read b */

_ds_load_b64 v[vgprValuB_X0_I0+0:vgprValuB_X0_I0+0+1], v[vgprLocalReadAddrB] offset:0 // L -> Reg lro=0 swapByteOffset=0 ti=16 vIdx=0 rIdx=0 oIdx=0 buffer=0 iui=0
_ds_load_b64 v[vgprValuB_X0_I0+2:vgprValuB_X0_I0+2+1], v[vgprLocalReadAddrB] offset:2560 // L -> Reg lro=0 swapByteOffset=0 ti=16 vIdx=1 rIdx=0 oIdx=0 buffer=0 iui=0
	;; [unrolled: 1-line block ×7, first 2 shown]


/* local read inc a */

s_mov_b32 s58, 0x20                                // inc
_v_add_co_u32 v[vgprLocalReadAddrA], vcc, s58, v[vgprLocalReadAddrA] // lrA += 32 (LSU*bpe)


/* local read inc b */

s_mov_b32 s58, 0x20                                // inc
_v_add_co_u32 v[vgprLocalReadAddrB], vcc, s58, v[vgprLocalReadAddrB] // lrB += 32 (LSU*bpe)

s_waitcnt lgkmcnt(0)                               // lgkmcnt=0 vmcnt=-14wait for local read


	;; [unrolled: 1-line block ×3, first 2 shown]
/* tail loop mfma iter 0: numReadsIterCoalescedA=1, numReadsIterCoalescedB=1 */
v_and_b32 v141, 63, v[vgprSerial]                  // v141 = v[vgprSerial] % 64
v_lshrrev_b32 v141, 4, v141                        // v141 = v141 / 16
                                                   // v141 = v141 * 1 (multiplier is 1, do nothing)
v_cmp_ge_i32 s[82:83], v141, s[sgprLoopCounterL]   // check K index >= Size L
v_cndmask_b32 v[vgprValuA_X0_I0+0+0+0+0], v[vgprValuA_X0_I0+0+0+0+0], 0x0, s[82:83] // set 0 if K_idx >= sizeL
v_cndmask_b32 v[vgprValuA_X0_I0+2+0+0+0], v[vgprValuA_X0_I0+2+0+0+0], 0x0, s[82:83] // set 0 if K_idx >= sizeL
v_cndmask_b32 v[vgprValuA_X0_I0+4+0+0+0], v[vgprValuA_X0_I0+4+0+0+0], 0x0, s[82:83] // set 0 if K_idx >= sizeL
v_cndmask_b32 v[vgprValuA_X0_I0+6+0+0+0], v[vgprValuA_X0_I0+6+0+0+0], 0x0, s[82:83] // set 0 if K_idx >= sizeL
v_cndmask_b32 v[vgprValuB_X0_I0+0+0+0+0], v[vgprValuB_X0_I0+0+0+0+0], 0x0, s[82:83] // set 0 if K_idx >= sizeL
v_cndmask_b32 v[vgprValuB_X0_I0+2+0+0+0], v[vgprValuB_X0_I0+2+0+0+0], 0x0, s[82:83] // set 0 if K_idx >= sizeL
	;; [unrolled: 1-line block ×7, first 2 shown]
v_cndmask_b32 v[vgprValuA_X0_I0+0+0+0+1], v[vgprValuA_X0_I0+0+0+0+1], 0x0, s[82:83] // set 0 if K_idx >= sizeL
v_cndmask_b32 v[vgprValuA_X0_I0+2+0+0+1], v[vgprValuA_X0_I0+2+0+0+1], 0x0, s[82:83] // set 0 if K_idx >= sizeL
	;; [unrolled: 1-line block ×4, first 2 shown]
v_cndmask_b32 v[vgprValuB_X0_I0+0+0+0+1], v[vgprValuB_X0_I0+0+0+0+1], 0x0, s[82:83] // set 0 if K_idx >= sizeL
v_cndmask_b32 v[vgprValuB_X0_I0+2+0+0+1], v[vgprValuB_X0_I0+2+0+0+1], 0x0, s[82:83] // set 0 if K_idx >= sizeL
	;; [unrolled: 1-line block ×7, first 2 shown]
s_nop 1
v_add_f32 v141, -v[vgprValuA_X0_I0+0+0+0+1], 0     // Ai=-Ai
v_mfma_f32_16x16x4_f32 a[0+0:3+0], v[vgprValuB_X0_I0+0+0+0], v[vgprValuA_X0_I0+0+0+0], a[0:3]
 // Cr += Ar*Br
v_mfma_f32_16x16x4_f32 a[112+0:115+0], v[vgprValuB_X0_I0+0+0+0], v[vgprValuA_X0_I0+0+0+0+1], a[112:115]
 // Ci += Ai*Br
v_mfma_f32_16x16x4_f32 a[0+0:3+0], v[vgprValuB_X0_I0+0+0+0+1], v141, a[0:3]
 // Cr += -Ai*Bi
v_mfma_f32_16x16x4_f32 a[112+0:115+0], v[vgprValuB_X0_I0+0+0+0+1], v[vgprValuA_X0_I0+0+0+0], a[112:115]
 // Ci += Ar*Bi
v_mfma_f32_16x16x4_f32 a[16+0:19+0], v[vgprValuB_X0_I0+2+0+0], v[vgprValuA_X0_I0+0+0+0], a[16:19]
 // Cr += Ar*Br
v_mfma_f32_16x16x4_f32 a[128+0:131+0], v[vgprValuB_X0_I0+2+0+0], v[vgprValuA_X0_I0+0+0+0+1], a[128:131]
 // Ci += Ai*Br
v_mfma_f32_16x16x4_f32 a[16+0:19+0], v[vgprValuB_X0_I0+2+0+0+1], v141, a[16:19]
 // Cr += -Ai*Bi
v_mfma_f32_16x16x4_f32 a[128+0:131+0], v[vgprValuB_X0_I0+2+0+0+1], v[vgprValuA_X0_I0+0+0+0], a[128:131]
 // Ci += Ar*Bi
v_mfma_f32_16x16x4_f32 a[32+0:35+0], v[vgprValuB_X0_I0+4+0+0], v[vgprValuA_X0_I0+0+0+0], a[32:35]
 // Cr += Ar*Br
v_mfma_f32_16x16x4_f32 a[144+0:147+0], v[vgprValuB_X0_I0+4+0+0], v[vgprValuA_X0_I0+0+0+0+1], a[144:147]
 // Ci += Ai*Br
v_mfma_f32_16x16x4_f32 a[32+0:35+0], v[vgprValuB_X0_I0+4+0+0+1], v141, a[32:35]
 // Cr += -Ai*Bi
v_mfma_f32_16x16x4_f32 a[144+0:147+0], v[vgprValuB_X0_I0+4+0+0+1], v[vgprValuA_X0_I0+0+0+0], a[144:147]
 // Ci += Ar*Bi
v_mfma_f32_16x16x4_f32 a[48+0:51+0], v[vgprValuB_X0_I0+6+0+0], v[vgprValuA_X0_I0+0+0+0], a[48:51]
 // Cr += Ar*Br
v_mfma_f32_16x16x4_f32 a[160+0:163+0], v[vgprValuB_X0_I0+6+0+0], v[vgprValuA_X0_I0+0+0+0+1], a[160:163]
 // Ci += Ai*Br
v_mfma_f32_16x16x4_f32 a[48+0:51+0], v[vgprValuB_X0_I0+6+0+0+1], v141, a[48:51]
 // Cr += -Ai*Bi
v_mfma_f32_16x16x4_f32 a[160+0:163+0], v[vgprValuB_X0_I0+6+0+0+1], v[vgprValuA_X0_I0+0+0+0], a[160:163]
 // Ci += Ar*Bi
v_mfma_f32_16x16x4_f32 a[64+0:67+0], v[vgprValuB_X0_I0+8+0+0], v[vgprValuA_X0_I0+0+0+0], a[64:67]
 // Cr += Ar*Br
v_mfma_f32_16x16x4_f32 a[176+0:179+0], v[vgprValuB_X0_I0+8+0+0], v[vgprValuA_X0_I0+0+0+0+1], a[176:179]
 // Ci += Ai*Br
v_mfma_f32_16x16x4_f32 a[64+0:67+0], v[vgprValuB_X0_I0+8+0+0+1], v141, a[64:67]
 // Cr += -Ai*Bi
v_mfma_f32_16x16x4_f32 a[176+0:179+0], v[vgprValuB_X0_I0+8+0+0+1], v[vgprValuA_X0_I0+0+0+0], a[176:179]
 // Ci += Ar*Bi
v_mfma_f32_16x16x4_f32 a[80+0:83+0], v[vgprValuB_X0_I0+10+0+0], v[vgprValuA_X0_I0+0+0+0], a[80:83]
 // Cr += Ar*Br
v_mfma_f32_16x16x4_f32 a[192+0:195+0], v[vgprValuB_X0_I0+10+0+0], v[vgprValuA_X0_I0+0+0+0+1], a[192:195]
 // Ci += Ai*Br
v_mfma_f32_16x16x4_f32 a[80+0:83+0], v[vgprValuB_X0_I0+10+0+0+1], v141, a[80:83]
 // Cr += -Ai*Bi
v_mfma_f32_16x16x4_f32 a[192+0:195+0], v[vgprValuB_X0_I0+10+0+0+1], v[vgprValuA_X0_I0+0+0+0], a[192:195]
 // Ci += Ar*Bi
v_mfma_f32_16x16x4_f32 a[96+0:99+0], v[vgprValuB_X0_I0+12+0+0], v[vgprValuA_X0_I0+0+0+0], a[96:99]
 // Cr += Ar*Br
v_mfma_f32_16x16x4_f32 a[208+0:211+0], v[vgprValuB_X0_I0+12+0+0], v[vgprValuA_X0_I0+0+0+0+1], a[208:211]
 // Ci += Ai*Br
v_mfma_f32_16x16x4_f32 a[96+0:99+0], v[vgprValuB_X0_I0+12+0+0+1], v141, a[96:99]
 // Cr += -Ai*Bi
v_mfma_f32_16x16x4_f32 a[208+0:211+0], v[vgprValuB_X0_I0+12+0+0+1], v[vgprValuA_X0_I0+0+0+0], a[208:211]
 // Ci += Ar*Bi
v_add_f32 v141, -v[vgprValuA_X0_I0+2+0+0+1], 0     // Ai=-Ai
v_mfma_f32_16x16x4_f32 a[4+0:7+0], v[vgprValuB_X0_I0+0+0+0], v[vgprValuA_X0_I0+2+0+0], a[4:7]
 // Cr += Ar*Br
v_mfma_f32_16x16x4_f32 a[116+0:119+0], v[vgprValuB_X0_I0+0+0+0], v[vgprValuA_X0_I0+2+0+0+1], a[116:119]
 // Ci += Ai*Br
v_mfma_f32_16x16x4_f32 a[4+0:7+0], v[vgprValuB_X0_I0+0+0+0+1], v141, a[4:7]
 // Cr += -Ai*Bi
v_mfma_f32_16x16x4_f32 a[116+0:119+0], v[vgprValuB_X0_I0+0+0+0+1], v[vgprValuA_X0_I0+2+0+0], a[116:119]
 // Ci += Ar*Bi
v_mfma_f32_16x16x4_f32 a[20+0:23+0], v[vgprValuB_X0_I0+2+0+0], v[vgprValuA_X0_I0+2+0+0], a[20:23]
 // Cr += Ar*Br
v_mfma_f32_16x16x4_f32 a[132+0:135+0], v[vgprValuB_X0_I0+2+0+0], v[vgprValuA_X0_I0+2+0+0+1], a[132:135]
 // Ci += Ai*Br
v_mfma_f32_16x16x4_f32 a[20+0:23+0], v[vgprValuB_X0_I0+2+0+0+1], v141, a[20:23]
 // Cr += -Ai*Bi
v_mfma_f32_16x16x4_f32 a[132+0:135+0], v[vgprValuB_X0_I0+2+0+0+1], v[vgprValuA_X0_I0+2+0+0], a[132:135]
 // Ci += Ar*Bi
v_mfma_f32_16x16x4_f32 a[36+0:39+0], v[vgprValuB_X0_I0+4+0+0], v[vgprValuA_X0_I0+2+0+0], a[36:39]
 // Cr += Ar*Br
v_mfma_f32_16x16x4_f32 a[148+0:151+0], v[vgprValuB_X0_I0+4+0+0], v[vgprValuA_X0_I0+2+0+0+1], a[148:151]
 // Ci += Ai*Br
v_mfma_f32_16x16x4_f32 a[36+0:39+0], v[vgprValuB_X0_I0+4+0+0+1], v141, a[36:39]
 // Cr += -Ai*Bi
v_mfma_f32_16x16x4_f32 a[148+0:151+0], v[vgprValuB_X0_I0+4+0+0+1], v[vgprValuA_X0_I0+2+0+0], a[148:151]
 // Ci += Ar*Bi
v_mfma_f32_16x16x4_f32 a[52+0:55+0], v[vgprValuB_X0_I0+6+0+0], v[vgprValuA_X0_I0+2+0+0], a[52:55]
 // Cr += Ar*Br
v_mfma_f32_16x16x4_f32 a[164+0:167+0], v[vgprValuB_X0_I0+6+0+0], v[vgprValuA_X0_I0+2+0+0+1], a[164:167]
 // Ci += Ai*Br
v_mfma_f32_16x16x4_f32 a[52+0:55+0], v[vgprValuB_X0_I0+6+0+0+1], v141, a[52:55]
 // Cr += -Ai*Bi
v_mfma_f32_16x16x4_f32 a[164+0:167+0], v[vgprValuB_X0_I0+6+0+0+1], v[vgprValuA_X0_I0+2+0+0], a[164:167]
 // Ci += Ar*Bi
v_mfma_f32_16x16x4_f32 a[68+0:71+0], v[vgprValuB_X0_I0+8+0+0], v[vgprValuA_X0_I0+2+0+0], a[68:71]
 // Cr += Ar*Br
v_mfma_f32_16x16x4_f32 a[180+0:183+0], v[vgprValuB_X0_I0+8+0+0], v[vgprValuA_X0_I0+2+0+0+1], a[180:183]
 // Ci += Ai*Br
v_mfma_f32_16x16x4_f32 a[68+0:71+0], v[vgprValuB_X0_I0+8+0+0+1], v141, a[68:71]
 // Cr += -Ai*Bi
v_mfma_f32_16x16x4_f32 a[180+0:183+0], v[vgprValuB_X0_I0+8+0+0+1], v[vgprValuA_X0_I0+2+0+0], a[180:183]
 // Ci += Ar*Bi
v_mfma_f32_16x16x4_f32 a[84+0:87+0], v[vgprValuB_X0_I0+10+0+0], v[vgprValuA_X0_I0+2+0+0], a[84:87]
 // Cr += Ar*Br
v_mfma_f32_16x16x4_f32 a[196+0:199+0], v[vgprValuB_X0_I0+10+0+0], v[vgprValuA_X0_I0+2+0+0+1], a[196:199]
 // Ci += Ai*Br
v_mfma_f32_16x16x4_f32 a[84+0:87+0], v[vgprValuB_X0_I0+10+0+0+1], v141, a[84:87]
 // Cr += -Ai*Bi
v_mfma_f32_16x16x4_f32 a[196+0:199+0], v[vgprValuB_X0_I0+10+0+0+1], v[vgprValuA_X0_I0+2+0+0], a[196:199]
 // Ci += Ar*Bi
v_mfma_f32_16x16x4_f32 a[100+0:103+0], v[vgprValuB_X0_I0+12+0+0], v[vgprValuA_X0_I0+2+0+0], a[100:103]
 // Cr += Ar*Br
v_mfma_f32_16x16x4_f32 a[212+0:215+0], v[vgprValuB_X0_I0+12+0+0], v[vgprValuA_X0_I0+2+0+0+1], a[212:215]
 // Ci += Ai*Br
v_mfma_f32_16x16x4_f32 a[100+0:103+0], v[vgprValuB_X0_I0+12+0+0+1], v141, a[100:103]
 // Cr += -Ai*Bi
v_mfma_f32_16x16x4_f32 a[212+0:215+0], v[vgprValuB_X0_I0+12+0+0+1], v[vgprValuA_X0_I0+2+0+0], a[212:215]
 // Ci += Ar*Bi
	;; [unrolled: 57-line block ×4, first 2 shown]


/* closeLoop loopL finalLoop=0 tailLoop=1 */
s_sub_i32 s[sgprLoopCounterL], s[sgprLoopCounterL], 0x4 // dec counterL (tailLoop)
s_add_u32 s[sgprOrigLoopCounter], s[sgprOrigLoopCounter], 0x4 // inc counterL
s_cmp_le_i32 s[sgprLoopCounterL], 0x0              // counterL<=0
s_cbranch_scc1 TailLoopEndL_7                      // exit LoopL


/* tail loop unroll iter 1 */


/* local read a */

_ds_load_b64 v[vgprValuA_X1_I0+0:vgprValuA_X1_I0+0+1], v[vgprLocalReadAddrA] offset:0 // L -> Reg lro=0 swapByteOffset=0 ti=128 vIdx=0 rIdx=0 oIdx=0 buffer=1 iui=0
_ds_load_b64 v[vgprValuA_X1_I0+2:vgprValuA_X1_I0+2+1], v[vgprLocalReadAddrA] offset:128 // L -> Reg lro=0 swapByteOffset=0 ti=128 vIdx=0 rIdx=0 oIdx=0 buffer=1 iui=0
	;; [unrolled: 1-line block ×4, first 2 shown]


/* local read b */

_ds_load_b64 v[vgprValuB_X1_I0+0:vgprValuB_X1_I0+0+1], v[vgprLocalReadAddrB] offset:0 // L -> Reg lro=0 swapByteOffset=0 ti=16 vIdx=0 rIdx=0 oIdx=0 buffer=1 iui=0
_ds_load_b64 v[vgprValuB_X1_I0+2:vgprValuB_X1_I0+2+1], v[vgprLocalReadAddrB] offset:2560 // L -> Reg lro=0 swapByteOffset=0 ti=16 vIdx=1 rIdx=0 oIdx=0 buffer=1 iui=0
	;; [unrolled: 1-line block ×7, first 2 shown]


/* local read inc a */

s_mov_b32 s58, 0x20                                // inc
_v_add_co_u32 v[vgprLocalReadAddrA], vcc, s58, v[vgprLocalReadAddrA] // lrA += 32 (LSU*bpe)


/* local read inc b */

s_mov_b32 s58, 0x20                                // inc
_v_add_co_u32 v[vgprLocalReadAddrB], vcc, s58, v[vgprLocalReadAddrB] // lrB += 32 (LSU*bpe)

s_waitcnt lgkmcnt(0)                               // lgkmcnt=0 vmcnt=-14wait for local read


	;; [unrolled: 1-line block ×3, first 2 shown]
/* tail loop mfma iter 1: numReadsIterCoalescedA=1, numReadsIterCoalescedB=1 */
v_and_b32 v141, 63, v[vgprSerial]                  // v141 = v[vgprSerial] % 64
v_lshrrev_b32 v141, 4, v141                        // v141 = v141 / 16
                                                   // v141 = v141 * 1 (multiplier is 1, do nothing)
v_cmp_ge_i32 s[82:83], v141, s[sgprLoopCounterL]   // check K index >= Size L
v_cndmask_b32 v[vgprValuA_X1_I0+0+0+0+0], v[vgprValuA_X1_I0+0+0+0+0], 0x0, s[82:83] // set 0 if K_idx >= sizeL
v_cndmask_b32 v[vgprValuA_X1_I0+2+0+0+0], v[vgprValuA_X1_I0+2+0+0+0], 0x0, s[82:83] // set 0 if K_idx >= sizeL
	;; [unrolled: 1-line block ×4, first 2 shown]
v_cndmask_b32 v[vgprValuB_X1_I0+0+0+0+0], v[vgprValuB_X1_I0+0+0+0+0], 0x0, s[82:83] // set 0 if K_idx >= sizeL
v_cndmask_b32 v[vgprValuB_X1_I0+2+0+0+0], v[vgprValuB_X1_I0+2+0+0+0], 0x0, s[82:83] // set 0 if K_idx >= sizeL
v_cndmask_b32 v[vgprValuB_X1_I0+4+0+0+0], v[vgprValuB_X1_I0+4+0+0+0], 0x0, s[82:83] // set 0 if K_idx >= sizeL
v_cndmask_b32 v[vgprValuB_X1_I0+6+0+0+0], v[vgprValuB_X1_I0+6+0+0+0], 0x0, s[82:83] // set 0 if K_idx >= sizeL
v_cndmask_b32 v[vgprValuB_X1_I0+8+0+0+0], v[vgprValuB_X1_I0+8+0+0+0], 0x0, s[82:83] // set 0 if K_idx >= sizeL
v_cndmask_b32 v[vgprValuB_X1_I0+10+0+0+0], v[vgprValuB_X1_I0+10+0+0+0], 0x0, s[82:83] // set 0 if K_idx >= sizeL
v_cndmask_b32 v[vgprValuB_X1_I0+12+0+0+0], v[vgprValuB_X1_I0+12+0+0+0], 0x0, s[82:83] // set 0 if K_idx >= sizeL
v_cndmask_b32 v[vgprValuA_X1_I0+0+0+0+1], v[vgprValuA_X1_I0+0+0+0+1], 0x0, s[82:83] // set 0 if K_idx >= sizeL
v_cndmask_b32 v[vgprValuA_X1_I0+2+0+0+1], v[vgprValuA_X1_I0+2+0+0+1], 0x0, s[82:83] // set 0 if K_idx >= sizeL
v_cndmask_b32 v[vgprValuA_X1_I0+4+0+0+1], v[vgprValuA_X1_I0+4+0+0+1], 0x0, s[82:83] // set 0 if K_idx >= sizeL
v_cndmask_b32 v[vgprValuA_X1_I0+6+0+0+1], v[vgprValuA_X1_I0+6+0+0+1], 0x0, s[82:83] // set 0 if K_idx >= sizeL
v_cndmask_b32 v[vgprValuB_X1_I0+0+0+0+1], v[vgprValuB_X1_I0+0+0+0+1], 0x0, s[82:83] // set 0 if K_idx >= sizeL
v_cndmask_b32 v[vgprValuB_X1_I0+2+0+0+1], v[vgprValuB_X1_I0+2+0+0+1], 0x0, s[82:83] // set 0 if K_idx >= sizeL
	;; [unrolled: 1-line block ×7, first 2 shown]
s_nop 1
v_add_f32 v141, -v[vgprValuA_X1_I0+0+0+0+1], 0     // Ai=-Ai
v_mfma_f32_16x16x4_f32 a[0+0:3+0], v[vgprValuB_X1_I0+0+0+0], v[vgprValuA_X1_I0+0+0+0], a[0:3]
 // Cr += Ar*Br
v_mfma_f32_16x16x4_f32 a[112+0:115+0], v[vgprValuB_X1_I0+0+0+0], v[vgprValuA_X1_I0+0+0+0+1], a[112:115]
 // Ci += Ai*Br
v_mfma_f32_16x16x4_f32 a[0+0:3+0], v[vgprValuB_X1_I0+0+0+0+1], v141, a[0:3]
 // Cr += -Ai*Bi
v_mfma_f32_16x16x4_f32 a[112+0:115+0], v[vgprValuB_X1_I0+0+0+0+1], v[vgprValuA_X1_I0+0+0+0], a[112:115]
 // Ci += Ar*Bi
v_mfma_f32_16x16x4_f32 a[16+0:19+0], v[vgprValuB_X1_I0+2+0+0], v[vgprValuA_X1_I0+0+0+0], a[16:19]
 // Cr += Ar*Br
v_mfma_f32_16x16x4_f32 a[128+0:131+0], v[vgprValuB_X1_I0+2+0+0], v[vgprValuA_X1_I0+0+0+0+1], a[128:131]
 // Ci += Ai*Br
v_mfma_f32_16x16x4_f32 a[16+0:19+0], v[vgprValuB_X1_I0+2+0+0+1], v141, a[16:19]
 // Cr += -Ai*Bi
v_mfma_f32_16x16x4_f32 a[128+0:131+0], v[vgprValuB_X1_I0+2+0+0+1], v[vgprValuA_X1_I0+0+0+0], a[128:131]
 // Ci += Ar*Bi
v_mfma_f32_16x16x4_f32 a[32+0:35+0], v[vgprValuB_X1_I0+4+0+0], v[vgprValuA_X1_I0+0+0+0], a[32:35]
 // Cr += Ar*Br
v_mfma_f32_16x16x4_f32 a[144+0:147+0], v[vgprValuB_X1_I0+4+0+0], v[vgprValuA_X1_I0+0+0+0+1], a[144:147]
 // Ci += Ai*Br
v_mfma_f32_16x16x4_f32 a[32+0:35+0], v[vgprValuB_X1_I0+4+0+0+1], v141, a[32:35]
 // Cr += -Ai*Bi
v_mfma_f32_16x16x4_f32 a[144+0:147+0], v[vgprValuB_X1_I0+4+0+0+1], v[vgprValuA_X1_I0+0+0+0], a[144:147]
 // Ci += Ar*Bi
v_mfma_f32_16x16x4_f32 a[48+0:51+0], v[vgprValuB_X1_I0+6+0+0], v[vgprValuA_X1_I0+0+0+0], a[48:51]
 // Cr += Ar*Br
v_mfma_f32_16x16x4_f32 a[160+0:163+0], v[vgprValuB_X1_I0+6+0+0], v[vgprValuA_X1_I0+0+0+0+1], a[160:163]
 // Ci += Ai*Br
v_mfma_f32_16x16x4_f32 a[48+0:51+0], v[vgprValuB_X1_I0+6+0+0+1], v141, a[48:51]
 // Cr += -Ai*Bi
v_mfma_f32_16x16x4_f32 a[160+0:163+0], v[vgprValuB_X1_I0+6+0+0+1], v[vgprValuA_X1_I0+0+0+0], a[160:163]
 // Ci += Ar*Bi
v_mfma_f32_16x16x4_f32 a[64+0:67+0], v[vgprValuB_X1_I0+8+0+0], v[vgprValuA_X1_I0+0+0+0], a[64:67]
 // Cr += Ar*Br
v_mfma_f32_16x16x4_f32 a[176+0:179+0], v[vgprValuB_X1_I0+8+0+0], v[vgprValuA_X1_I0+0+0+0+1], a[176:179]
 // Ci += Ai*Br
v_mfma_f32_16x16x4_f32 a[64+0:67+0], v[vgprValuB_X1_I0+8+0+0+1], v141, a[64:67]
 // Cr += -Ai*Bi
v_mfma_f32_16x16x4_f32 a[176+0:179+0], v[vgprValuB_X1_I0+8+0+0+1], v[vgprValuA_X1_I0+0+0+0], a[176:179]
 // Ci += Ar*Bi
v_mfma_f32_16x16x4_f32 a[80+0:83+0], v[vgprValuB_X1_I0+10+0+0], v[vgprValuA_X1_I0+0+0+0], a[80:83]
 // Cr += Ar*Br
v_mfma_f32_16x16x4_f32 a[192+0:195+0], v[vgprValuB_X1_I0+10+0+0], v[vgprValuA_X1_I0+0+0+0+1], a[192:195]
 // Ci += Ai*Br
v_mfma_f32_16x16x4_f32 a[80+0:83+0], v[vgprValuB_X1_I0+10+0+0+1], v141, a[80:83]
 // Cr += -Ai*Bi
v_mfma_f32_16x16x4_f32 a[192+0:195+0], v[vgprValuB_X1_I0+10+0+0+1], v[vgprValuA_X1_I0+0+0+0], a[192:195]
 // Ci += Ar*Bi
v_mfma_f32_16x16x4_f32 a[96+0:99+0], v[vgprValuB_X1_I0+12+0+0], v[vgprValuA_X1_I0+0+0+0], a[96:99]
 // Cr += Ar*Br
v_mfma_f32_16x16x4_f32 a[208+0:211+0], v[vgprValuB_X1_I0+12+0+0], v[vgprValuA_X1_I0+0+0+0+1], a[208:211]
 // Ci += Ai*Br
v_mfma_f32_16x16x4_f32 a[96+0:99+0], v[vgprValuB_X1_I0+12+0+0+1], v141, a[96:99]
 // Cr += -Ai*Bi
v_mfma_f32_16x16x4_f32 a[208+0:211+0], v[vgprValuB_X1_I0+12+0+0+1], v[vgprValuA_X1_I0+0+0+0], a[208:211]
 // Ci += Ar*Bi
v_add_f32 v141, -v[vgprValuA_X1_I0+2+0+0+1], 0     // Ai=-Ai
v_mfma_f32_16x16x4_f32 a[4+0:7+0], v[vgprValuB_X1_I0+0+0+0], v[vgprValuA_X1_I0+2+0+0], a[4:7]
 // Cr += Ar*Br
v_mfma_f32_16x16x4_f32 a[116+0:119+0], v[vgprValuB_X1_I0+0+0+0], v[vgprValuA_X1_I0+2+0+0+1], a[116:119]
 // Ci += Ai*Br
v_mfma_f32_16x16x4_f32 a[4+0:7+0], v[vgprValuB_X1_I0+0+0+0+1], v141, a[4:7]
 // Cr += -Ai*Bi
v_mfma_f32_16x16x4_f32 a[116+0:119+0], v[vgprValuB_X1_I0+0+0+0+1], v[vgprValuA_X1_I0+2+0+0], a[116:119]
 // Ci += Ar*Bi
v_mfma_f32_16x16x4_f32 a[20+0:23+0], v[vgprValuB_X1_I0+2+0+0], v[vgprValuA_X1_I0+2+0+0], a[20:23]
 // Cr += Ar*Br
v_mfma_f32_16x16x4_f32 a[132+0:135+0], v[vgprValuB_X1_I0+2+0+0], v[vgprValuA_X1_I0+2+0+0+1], a[132:135]
 // Ci += Ai*Br
v_mfma_f32_16x16x4_f32 a[20+0:23+0], v[vgprValuB_X1_I0+2+0+0+1], v141, a[20:23]
 // Cr += -Ai*Bi
v_mfma_f32_16x16x4_f32 a[132+0:135+0], v[vgprValuB_X1_I0+2+0+0+1], v[vgprValuA_X1_I0+2+0+0], a[132:135]
 // Ci += Ar*Bi
v_mfma_f32_16x16x4_f32 a[36+0:39+0], v[vgprValuB_X1_I0+4+0+0], v[vgprValuA_X1_I0+2+0+0], a[36:39]
 // Cr += Ar*Br
v_mfma_f32_16x16x4_f32 a[148+0:151+0], v[vgprValuB_X1_I0+4+0+0], v[vgprValuA_X1_I0+2+0+0+1], a[148:151]
 // Ci += Ai*Br
v_mfma_f32_16x16x4_f32 a[36+0:39+0], v[vgprValuB_X1_I0+4+0+0+1], v141, a[36:39]
 // Cr += -Ai*Bi
v_mfma_f32_16x16x4_f32 a[148+0:151+0], v[vgprValuB_X1_I0+4+0+0+1], v[vgprValuA_X1_I0+2+0+0], a[148:151]
 // Ci += Ar*Bi
v_mfma_f32_16x16x4_f32 a[52+0:55+0], v[vgprValuB_X1_I0+6+0+0], v[vgprValuA_X1_I0+2+0+0], a[52:55]
 // Cr += Ar*Br
v_mfma_f32_16x16x4_f32 a[164+0:167+0], v[vgprValuB_X1_I0+6+0+0], v[vgprValuA_X1_I0+2+0+0+1], a[164:167]
 // Ci += Ai*Br
v_mfma_f32_16x16x4_f32 a[52+0:55+0], v[vgprValuB_X1_I0+6+0+0+1], v141, a[52:55]
 // Cr += -Ai*Bi
v_mfma_f32_16x16x4_f32 a[164+0:167+0], v[vgprValuB_X1_I0+6+0+0+1], v[vgprValuA_X1_I0+2+0+0], a[164:167]
 // Ci += Ar*Bi
v_mfma_f32_16x16x4_f32 a[68+0:71+0], v[vgprValuB_X1_I0+8+0+0], v[vgprValuA_X1_I0+2+0+0], a[68:71]
 // Cr += Ar*Br
v_mfma_f32_16x16x4_f32 a[180+0:183+0], v[vgprValuB_X1_I0+8+0+0], v[vgprValuA_X1_I0+2+0+0+1], a[180:183]
 // Ci += Ai*Br
v_mfma_f32_16x16x4_f32 a[68+0:71+0], v[vgprValuB_X1_I0+8+0+0+1], v141, a[68:71]
 // Cr += -Ai*Bi
v_mfma_f32_16x16x4_f32 a[180+0:183+0], v[vgprValuB_X1_I0+8+0+0+1], v[vgprValuA_X1_I0+2+0+0], a[180:183]
 // Ci += Ar*Bi
v_mfma_f32_16x16x4_f32 a[84+0:87+0], v[vgprValuB_X1_I0+10+0+0], v[vgprValuA_X1_I0+2+0+0], a[84:87]
 // Cr += Ar*Br
v_mfma_f32_16x16x4_f32 a[196+0:199+0], v[vgprValuB_X1_I0+10+0+0], v[vgprValuA_X1_I0+2+0+0+1], a[196:199]
 // Ci += Ai*Br
v_mfma_f32_16x16x4_f32 a[84+0:87+0], v[vgprValuB_X1_I0+10+0+0+1], v141, a[84:87]
 // Cr += -Ai*Bi
v_mfma_f32_16x16x4_f32 a[196+0:199+0], v[vgprValuB_X1_I0+10+0+0+1], v[vgprValuA_X1_I0+2+0+0], a[196:199]
 // Ci += Ar*Bi
v_mfma_f32_16x16x4_f32 a[100+0:103+0], v[vgprValuB_X1_I0+12+0+0], v[vgprValuA_X1_I0+2+0+0], a[100:103]
 // Cr += Ar*Br
v_mfma_f32_16x16x4_f32 a[212+0:215+0], v[vgprValuB_X1_I0+12+0+0], v[vgprValuA_X1_I0+2+0+0+1], a[212:215]
 // Ci += Ai*Br
v_mfma_f32_16x16x4_f32 a[100+0:103+0], v[vgprValuB_X1_I0+12+0+0+1], v141, a[100:103]
 // Cr += -Ai*Bi
v_mfma_f32_16x16x4_f32 a[212+0:215+0], v[vgprValuB_X1_I0+12+0+0+1], v[vgprValuA_X1_I0+2+0+0], a[212:215]
 // Ci += Ar*Bi
	;; [unrolled: 57-line block ×4, first 2 shown]


/* closeLoop loopL finalLoop=0 tailLoop=1 */
s_sub_i32 s[sgprLoopCounterL], s[sgprLoopCounterL], 0x4 // dec counterL (tailLoop)
s_add_u32 s[sgprOrigLoopCounter], s[sgprOrigLoopCounter], 0x4 // inc counterL
s_cmp_le_i32 s[sgprLoopCounterL], 0x0              // counterL<=0
s_cbranch_scc1 TailLoopEndL_7                      // exit LoopL


/* tail loop unroll iter 2 */


/* local read a */

_ds_load_b64 v[vgprValuA_X2_I0+0:vgprValuA_X2_I0+0+1], v[vgprLocalReadAddrA] offset:0 // L -> Reg lro=0 swapByteOffset=0 ti=128 vIdx=0 rIdx=0 oIdx=0 buffer=2 iui=0
_ds_load_b64 v[vgprValuA_X2_I0+2:vgprValuA_X2_I0+2+1], v[vgprLocalReadAddrA] offset:128 // L -> Reg lro=0 swapByteOffset=0 ti=128 vIdx=0 rIdx=0 oIdx=0 buffer=2 iui=0
	;; [unrolled: 1-line block ×4, first 2 shown]


/* local read b */

_ds_load_b64 v[vgprValuB_X2_I0+0:vgprValuB_X2_I0+0+1], v[vgprLocalReadAddrB] offset:0 // L -> Reg lro=0 swapByteOffset=0 ti=16 vIdx=0 rIdx=0 oIdx=0 buffer=2 iui=0
_ds_load_b64 v[vgprValuB_X2_I0+2:vgprValuB_X2_I0+2+1], v[vgprLocalReadAddrB] offset:2560 // L -> Reg lro=0 swapByteOffset=0 ti=16 vIdx=1 rIdx=0 oIdx=0 buffer=2 iui=0
	;; [unrolled: 1-line block ×7, first 2 shown]


/* local read inc a */

s_mov_b32 s58, 0x20                                // inc
_v_add_co_u32 v[vgprLocalReadAddrA], vcc, s58, v[vgprLocalReadAddrA] // lrA += 32 (LSU*bpe)


/* local read inc b */

s_mov_b32 s58, 0x20                                // inc
_v_add_co_u32 v[vgprLocalReadAddrB], vcc, s58, v[vgprLocalReadAddrB] // lrB += 32 (LSU*bpe)

s_waitcnt lgkmcnt(0)                               // lgkmcnt=0 vmcnt=-14wait for local read


	;; [unrolled: 1-line block ×3, first 2 shown]
/* tail loop mfma iter 2: numReadsIterCoalescedA=1, numReadsIterCoalescedB=1 */
v_and_b32 v141, 63, v[vgprSerial]                  // v141 = v[vgprSerial] % 64
v_lshrrev_b32 v141, 4, v141                        // v141 = v141 / 16
                                                   // v141 = v141 * 1 (multiplier is 1, do nothing)
v_cmp_ge_i32 s[82:83], v141, s[sgprLoopCounterL]   // check K index >= Size L
v_cndmask_b32 v[vgprValuA_X2_I0+0+0+0+0], v[vgprValuA_X2_I0+0+0+0+0], 0x0, s[82:83] // set 0 if K_idx >= sizeL
v_cndmask_b32 v[vgprValuA_X2_I0+2+0+0+0], v[vgprValuA_X2_I0+2+0+0+0], 0x0, s[82:83] // set 0 if K_idx >= sizeL
	;; [unrolled: 1-line block ×4, first 2 shown]
v_cndmask_b32 v[vgprValuB_X2_I0+0+0+0+0], v[vgprValuB_X2_I0+0+0+0+0], 0x0, s[82:83] // set 0 if K_idx >= sizeL
v_cndmask_b32 v[vgprValuB_X2_I0+2+0+0+0], v[vgprValuB_X2_I0+2+0+0+0], 0x0, s[82:83] // set 0 if K_idx >= sizeL
	;; [unrolled: 1-line block ×7, first 2 shown]
v_cndmask_b32 v[vgprValuA_X2_I0+0+0+0+1], v[vgprValuA_X2_I0+0+0+0+1], 0x0, s[82:83] // set 0 if K_idx >= sizeL
v_cndmask_b32 v[vgprValuA_X2_I0+2+0+0+1], v[vgprValuA_X2_I0+2+0+0+1], 0x0, s[82:83] // set 0 if K_idx >= sizeL
	;; [unrolled: 1-line block ×4, first 2 shown]
v_cndmask_b32 v[vgprValuB_X2_I0+0+0+0+1], v[vgprValuB_X2_I0+0+0+0+1], 0x0, s[82:83] // set 0 if K_idx >= sizeL
v_cndmask_b32 v[vgprValuB_X2_I0+2+0+0+1], v[vgprValuB_X2_I0+2+0+0+1], 0x0, s[82:83] // set 0 if K_idx >= sizeL
	;; [unrolled: 1-line block ×7, first 2 shown]
s_nop 1
v_add_f32 v141, -v[vgprValuA_X2_I0+0+0+0+1], 0     // Ai=-Ai
v_mfma_f32_16x16x4_f32 a[0+0:3+0], v[vgprValuB_X2_I0+0+0+0], v[vgprValuA_X2_I0+0+0+0], a[0:3]
 // Cr += Ar*Br
v_mfma_f32_16x16x4_f32 a[112+0:115+0], v[vgprValuB_X2_I0+0+0+0], v[vgprValuA_X2_I0+0+0+0+1], a[112:115]
 // Ci += Ai*Br
v_mfma_f32_16x16x4_f32 a[0+0:3+0], v[vgprValuB_X2_I0+0+0+0+1], v141, a[0:3]
 // Cr += -Ai*Bi
v_mfma_f32_16x16x4_f32 a[112+0:115+0], v[vgprValuB_X2_I0+0+0+0+1], v[vgprValuA_X2_I0+0+0+0], a[112:115]
 // Ci += Ar*Bi
v_mfma_f32_16x16x4_f32 a[16+0:19+0], v[vgprValuB_X2_I0+2+0+0], v[vgprValuA_X2_I0+0+0+0], a[16:19]
 // Cr += Ar*Br
v_mfma_f32_16x16x4_f32 a[128+0:131+0], v[vgprValuB_X2_I0+2+0+0], v[vgprValuA_X2_I0+0+0+0+1], a[128:131]
 // Ci += Ai*Br
v_mfma_f32_16x16x4_f32 a[16+0:19+0], v[vgprValuB_X2_I0+2+0+0+1], v141, a[16:19]
 // Cr += -Ai*Bi
v_mfma_f32_16x16x4_f32 a[128+0:131+0], v[vgprValuB_X2_I0+2+0+0+1], v[vgprValuA_X2_I0+0+0+0], a[128:131]
 // Ci += Ar*Bi
v_mfma_f32_16x16x4_f32 a[32+0:35+0], v[vgprValuB_X2_I0+4+0+0], v[vgprValuA_X2_I0+0+0+0], a[32:35]
 // Cr += Ar*Br
v_mfma_f32_16x16x4_f32 a[144+0:147+0], v[vgprValuB_X2_I0+4+0+0], v[vgprValuA_X2_I0+0+0+0+1], a[144:147]
 // Ci += Ai*Br
v_mfma_f32_16x16x4_f32 a[32+0:35+0], v[vgprValuB_X2_I0+4+0+0+1], v141, a[32:35]
 // Cr += -Ai*Bi
v_mfma_f32_16x16x4_f32 a[144+0:147+0], v[vgprValuB_X2_I0+4+0+0+1], v[vgprValuA_X2_I0+0+0+0], a[144:147]
 // Ci += Ar*Bi
v_mfma_f32_16x16x4_f32 a[48+0:51+0], v[vgprValuB_X2_I0+6+0+0], v[vgprValuA_X2_I0+0+0+0], a[48:51]
 // Cr += Ar*Br
v_mfma_f32_16x16x4_f32 a[160+0:163+0], v[vgprValuB_X2_I0+6+0+0], v[vgprValuA_X2_I0+0+0+0+1], a[160:163]
 // Ci += Ai*Br
v_mfma_f32_16x16x4_f32 a[48+0:51+0], v[vgprValuB_X2_I0+6+0+0+1], v141, a[48:51]
 // Cr += -Ai*Bi
v_mfma_f32_16x16x4_f32 a[160+0:163+0], v[vgprValuB_X2_I0+6+0+0+1], v[vgprValuA_X2_I0+0+0+0], a[160:163]
 // Ci += Ar*Bi
v_mfma_f32_16x16x4_f32 a[64+0:67+0], v[vgprValuB_X2_I0+8+0+0], v[vgprValuA_X2_I0+0+0+0], a[64:67]
 // Cr += Ar*Br
v_mfma_f32_16x16x4_f32 a[176+0:179+0], v[vgprValuB_X2_I0+8+0+0], v[vgprValuA_X2_I0+0+0+0+1], a[176:179]
 // Ci += Ai*Br
v_mfma_f32_16x16x4_f32 a[64+0:67+0], v[vgprValuB_X2_I0+8+0+0+1], v141, a[64:67]
 // Cr += -Ai*Bi
v_mfma_f32_16x16x4_f32 a[176+0:179+0], v[vgprValuB_X2_I0+8+0+0+1], v[vgprValuA_X2_I0+0+0+0], a[176:179]
 // Ci += Ar*Bi
v_mfma_f32_16x16x4_f32 a[80+0:83+0], v[vgprValuB_X2_I0+10+0+0], v[vgprValuA_X2_I0+0+0+0], a[80:83]
 // Cr += Ar*Br
v_mfma_f32_16x16x4_f32 a[192+0:195+0], v[vgprValuB_X2_I0+10+0+0], v[vgprValuA_X2_I0+0+0+0+1], a[192:195]
 // Ci += Ai*Br
v_mfma_f32_16x16x4_f32 a[80+0:83+0], v[vgprValuB_X2_I0+10+0+0+1], v141, a[80:83]
 // Cr += -Ai*Bi
v_mfma_f32_16x16x4_f32 a[192+0:195+0], v[vgprValuB_X2_I0+10+0+0+1], v[vgprValuA_X2_I0+0+0+0], a[192:195]
 // Ci += Ar*Bi
v_mfma_f32_16x16x4_f32 a[96+0:99+0], v[vgprValuB_X2_I0+12+0+0], v[vgprValuA_X2_I0+0+0+0], a[96:99]
 // Cr += Ar*Br
v_mfma_f32_16x16x4_f32 a[208+0:211+0], v[vgprValuB_X2_I0+12+0+0], v[vgprValuA_X2_I0+0+0+0+1], a[208:211]
 // Ci += Ai*Br
v_mfma_f32_16x16x4_f32 a[96+0:99+0], v[vgprValuB_X2_I0+12+0+0+1], v141, a[96:99]
 // Cr += -Ai*Bi
v_mfma_f32_16x16x4_f32 a[208+0:211+0], v[vgprValuB_X2_I0+12+0+0+1], v[vgprValuA_X2_I0+0+0+0], a[208:211]
 // Ci += Ar*Bi
v_add_f32 v141, -v[vgprValuA_X2_I0+2+0+0+1], 0     // Ai=-Ai
v_mfma_f32_16x16x4_f32 a[4+0:7+0], v[vgprValuB_X2_I0+0+0+0], v[vgprValuA_X2_I0+2+0+0], a[4:7]
 // Cr += Ar*Br
v_mfma_f32_16x16x4_f32 a[116+0:119+0], v[vgprValuB_X2_I0+0+0+0], v[vgprValuA_X2_I0+2+0+0+1], a[116:119]
 // Ci += Ai*Br
v_mfma_f32_16x16x4_f32 a[4+0:7+0], v[vgprValuB_X2_I0+0+0+0+1], v141, a[4:7]
 // Cr += -Ai*Bi
v_mfma_f32_16x16x4_f32 a[116+0:119+0], v[vgprValuB_X2_I0+0+0+0+1], v[vgprValuA_X2_I0+2+0+0], a[116:119]
 // Ci += Ar*Bi
v_mfma_f32_16x16x4_f32 a[20+0:23+0], v[vgprValuB_X2_I0+2+0+0], v[vgprValuA_X2_I0+2+0+0], a[20:23]
 // Cr += Ar*Br
v_mfma_f32_16x16x4_f32 a[132+0:135+0], v[vgprValuB_X2_I0+2+0+0], v[vgprValuA_X2_I0+2+0+0+1], a[132:135]
 // Ci += Ai*Br
v_mfma_f32_16x16x4_f32 a[20+0:23+0], v[vgprValuB_X2_I0+2+0+0+1], v141, a[20:23]
 // Cr += -Ai*Bi
v_mfma_f32_16x16x4_f32 a[132+0:135+0], v[vgprValuB_X2_I0+2+0+0+1], v[vgprValuA_X2_I0+2+0+0], a[132:135]
 // Ci += Ar*Bi
v_mfma_f32_16x16x4_f32 a[36+0:39+0], v[vgprValuB_X2_I0+4+0+0], v[vgprValuA_X2_I0+2+0+0], a[36:39]
 // Cr += Ar*Br
v_mfma_f32_16x16x4_f32 a[148+0:151+0], v[vgprValuB_X2_I0+4+0+0], v[vgprValuA_X2_I0+2+0+0+1], a[148:151]
 // Ci += Ai*Br
v_mfma_f32_16x16x4_f32 a[36+0:39+0], v[vgprValuB_X2_I0+4+0+0+1], v141, a[36:39]
 // Cr += -Ai*Bi
v_mfma_f32_16x16x4_f32 a[148+0:151+0], v[vgprValuB_X2_I0+4+0+0+1], v[vgprValuA_X2_I0+2+0+0], a[148:151]
 // Ci += Ar*Bi
v_mfma_f32_16x16x4_f32 a[52+0:55+0], v[vgprValuB_X2_I0+6+0+0], v[vgprValuA_X2_I0+2+0+0], a[52:55]
 // Cr += Ar*Br
v_mfma_f32_16x16x4_f32 a[164+0:167+0], v[vgprValuB_X2_I0+6+0+0], v[vgprValuA_X2_I0+2+0+0+1], a[164:167]
 // Ci += Ai*Br
v_mfma_f32_16x16x4_f32 a[52+0:55+0], v[vgprValuB_X2_I0+6+0+0+1], v141, a[52:55]
 // Cr += -Ai*Bi
v_mfma_f32_16x16x4_f32 a[164+0:167+0], v[vgprValuB_X2_I0+6+0+0+1], v[vgprValuA_X2_I0+2+0+0], a[164:167]
 // Ci += Ar*Bi
v_mfma_f32_16x16x4_f32 a[68+0:71+0], v[vgprValuB_X2_I0+8+0+0], v[vgprValuA_X2_I0+2+0+0], a[68:71]
 // Cr += Ar*Br
v_mfma_f32_16x16x4_f32 a[180+0:183+0], v[vgprValuB_X2_I0+8+0+0], v[vgprValuA_X2_I0+2+0+0+1], a[180:183]
 // Ci += Ai*Br
v_mfma_f32_16x16x4_f32 a[68+0:71+0], v[vgprValuB_X2_I0+8+0+0+1], v141, a[68:71]
 // Cr += -Ai*Bi
v_mfma_f32_16x16x4_f32 a[180+0:183+0], v[vgprValuB_X2_I0+8+0+0+1], v[vgprValuA_X2_I0+2+0+0], a[180:183]
 // Ci += Ar*Bi
v_mfma_f32_16x16x4_f32 a[84+0:87+0], v[vgprValuB_X2_I0+10+0+0], v[vgprValuA_X2_I0+2+0+0], a[84:87]
 // Cr += Ar*Br
v_mfma_f32_16x16x4_f32 a[196+0:199+0], v[vgprValuB_X2_I0+10+0+0], v[vgprValuA_X2_I0+2+0+0+1], a[196:199]
 // Ci += Ai*Br
v_mfma_f32_16x16x4_f32 a[84+0:87+0], v[vgprValuB_X2_I0+10+0+0+1], v141, a[84:87]
 // Cr += -Ai*Bi
v_mfma_f32_16x16x4_f32 a[196+0:199+0], v[vgprValuB_X2_I0+10+0+0+1], v[vgprValuA_X2_I0+2+0+0], a[196:199]
 // Ci += Ar*Bi
v_mfma_f32_16x16x4_f32 a[100+0:103+0], v[vgprValuB_X2_I0+12+0+0], v[vgprValuA_X2_I0+2+0+0], a[100:103]
 // Cr += Ar*Br
v_mfma_f32_16x16x4_f32 a[212+0:215+0], v[vgprValuB_X2_I0+12+0+0], v[vgprValuA_X2_I0+2+0+0+1], a[212:215]
 // Ci += Ai*Br
v_mfma_f32_16x16x4_f32 a[100+0:103+0], v[vgprValuB_X2_I0+12+0+0+1], v141, a[100:103]
 // Cr += -Ai*Bi
v_mfma_f32_16x16x4_f32 a[212+0:215+0], v[vgprValuB_X2_I0+12+0+0+1], v[vgprValuA_X2_I0+2+0+0], a[212:215]
 // Ci += Ar*Bi
	;; [unrolled: 57-line block ×4, first 2 shown]


/* closeLoop loopL finalLoop=0 tailLoop=1 */
s_sub_i32 s[sgprLoopCounterL], s[sgprLoopCounterL], 0x4 // dec counterL (tailLoop)
s_add_u32 s[sgprOrigLoopCounter], s[sgprOrigLoopCounter], 0x4 // inc counterL
s_cmp_le_i32 s[sgprLoopCounterL], 0x0              // counterL<=0
s_cbranch_scc1 TailLoopEndL_7                      // exit LoopL


/* tail loop unroll iter 3 */


/* local read a */

_ds_load_b64 v[vgprValuA_X3_I0+0:vgprValuA_X3_I0+0+1], v[vgprLocalReadAddrA] offset:0 // L -> Reg lro=0 swapByteOffset=0 ti=128 vIdx=0 rIdx=0 oIdx=0 buffer=3 iui=0
_ds_load_b64 v[vgprValuA_X3_I0+2:vgprValuA_X3_I0+2+1], v[vgprLocalReadAddrA] offset:128 // L -> Reg lro=0 swapByteOffset=0 ti=128 vIdx=0 rIdx=0 oIdx=0 buffer=3 iui=0
	;; [unrolled: 1-line block ×4, first 2 shown]


/* local read b */

_ds_load_b64 v[vgprValuB_X3_I0+0:vgprValuB_X3_I0+0+1], v[vgprLocalReadAddrB] offset:0 // L -> Reg lro=0 swapByteOffset=0 ti=16 vIdx=0 rIdx=0 oIdx=0 buffer=3 iui=0
_ds_load_b64 v[vgprValuB_X3_I0+2:vgprValuB_X3_I0+2+1], v[vgprLocalReadAddrB] offset:2560 // L -> Reg lro=0 swapByteOffset=0 ti=16 vIdx=1 rIdx=0 oIdx=0 buffer=3 iui=0
	;; [unrolled: 1-line block ×7, first 2 shown]


/* local read inc a */

s_mov_b32 s58, 0x20                                // inc
_v_add_co_u32 v[vgprLocalReadAddrA], vcc, s58, v[vgprLocalReadAddrA] // lrA += 32 (LSU*bpe)


/* local read inc b */

s_mov_b32 s58, 0x40                                // inc
_v_add_co_u32 v[vgprLocalReadAddrB], vcc, s58, v[vgprLocalReadAddrB] // lrB += 64 (LSU*bpe)

s_waitcnt lgkmcnt(0)                               // lgkmcnt=0 vmcnt=-14wait for local read


	;; [unrolled: 1-line block ×3, first 2 shown]
/* tail loop mfma iter 3: numReadsIterCoalescedA=1, numReadsIterCoalescedB=1 */
v_and_b32 v141, 63, v[vgprSerial]                  // v141 = v[vgprSerial] % 64
v_lshrrev_b32 v141, 4, v141                        // v141 = v141 / 16
                                                   // v141 = v141 * 1 (multiplier is 1, do nothing)
v_cmp_ge_i32 s[82:83], v141, s[sgprLoopCounterL]   // check K index >= Size L
v_cndmask_b32 v[vgprValuA_X3_I0+0+0+0+0], v[vgprValuA_X3_I0+0+0+0+0], 0x0, s[82:83] // set 0 if K_idx >= sizeL
v_cndmask_b32 v[vgprValuA_X3_I0+2+0+0+0], v[vgprValuA_X3_I0+2+0+0+0], 0x0, s[82:83] // set 0 if K_idx >= sizeL
	;; [unrolled: 1-line block ×4, first 2 shown]
v_cndmask_b32 v[vgprValuB_X3_I0+0+0+0+0], v[vgprValuB_X3_I0+0+0+0+0], 0x0, s[82:83] // set 0 if K_idx >= sizeL
v_cndmask_b32 v[vgprValuB_X3_I0+2+0+0+0], v[vgprValuB_X3_I0+2+0+0+0], 0x0, s[82:83] // set 0 if K_idx >= sizeL
	;; [unrolled: 1-line block ×7, first 2 shown]
v_cndmask_b32 v[vgprValuA_X3_I0+0+0+0+1], v[vgprValuA_X3_I0+0+0+0+1], 0x0, s[82:83] // set 0 if K_idx >= sizeL
v_cndmask_b32 v[vgprValuA_X3_I0+2+0+0+1], v[vgprValuA_X3_I0+2+0+0+1], 0x0, s[82:83] // set 0 if K_idx >= sizeL
	;; [unrolled: 1-line block ×4, first 2 shown]
v_cndmask_b32 v[vgprValuB_X3_I0+0+0+0+1], v[vgprValuB_X3_I0+0+0+0+1], 0x0, s[82:83] // set 0 if K_idx >= sizeL
v_cndmask_b32 v[vgprValuB_X3_I0+2+0+0+1], v[vgprValuB_X3_I0+2+0+0+1], 0x0, s[82:83] // set 0 if K_idx >= sizeL
	;; [unrolled: 1-line block ×7, first 2 shown]
s_nop 1
v_add_f32 v141, -v[vgprValuA_X3_I0+0+0+0+1], 0     // Ai=-Ai
v_mfma_f32_16x16x4_f32 a[0+0:3+0], v[vgprValuB_X3_I0+0+0+0], v[vgprValuA_X3_I0+0+0+0], a[0:3]
 // Cr += Ar*Br
v_mfma_f32_16x16x4_f32 a[112+0:115+0], v[vgprValuB_X3_I0+0+0+0], v[vgprValuA_X3_I0+0+0+0+1], a[112:115]
 // Ci += Ai*Br
v_mfma_f32_16x16x4_f32 a[0+0:3+0], v[vgprValuB_X3_I0+0+0+0+1], v141, a[0:3]
 // Cr += -Ai*Bi
v_mfma_f32_16x16x4_f32 a[112+0:115+0], v[vgprValuB_X3_I0+0+0+0+1], v[vgprValuA_X3_I0+0+0+0], a[112:115]
 // Ci += Ar*Bi
v_mfma_f32_16x16x4_f32 a[16+0:19+0], v[vgprValuB_X3_I0+2+0+0], v[vgprValuA_X3_I0+0+0+0], a[16:19]
 // Cr += Ar*Br
v_mfma_f32_16x16x4_f32 a[128+0:131+0], v[vgprValuB_X3_I0+2+0+0], v[vgprValuA_X3_I0+0+0+0+1], a[128:131]
 // Ci += Ai*Br
v_mfma_f32_16x16x4_f32 a[16+0:19+0], v[vgprValuB_X3_I0+2+0+0+1], v141, a[16:19]
 // Cr += -Ai*Bi
v_mfma_f32_16x16x4_f32 a[128+0:131+0], v[vgprValuB_X3_I0+2+0+0+1], v[vgprValuA_X3_I0+0+0+0], a[128:131]
 // Ci += Ar*Bi
v_mfma_f32_16x16x4_f32 a[32+0:35+0], v[vgprValuB_X3_I0+4+0+0], v[vgprValuA_X3_I0+0+0+0], a[32:35]
 // Cr += Ar*Br
v_mfma_f32_16x16x4_f32 a[144+0:147+0], v[vgprValuB_X3_I0+4+0+0], v[vgprValuA_X3_I0+0+0+0+1], a[144:147]
 // Ci += Ai*Br
v_mfma_f32_16x16x4_f32 a[32+0:35+0], v[vgprValuB_X3_I0+4+0+0+1], v141, a[32:35]
 // Cr += -Ai*Bi
v_mfma_f32_16x16x4_f32 a[144+0:147+0], v[vgprValuB_X3_I0+4+0+0+1], v[vgprValuA_X3_I0+0+0+0], a[144:147]
 // Ci += Ar*Bi
v_mfma_f32_16x16x4_f32 a[48+0:51+0], v[vgprValuB_X3_I0+6+0+0], v[vgprValuA_X3_I0+0+0+0], a[48:51]
 // Cr += Ar*Br
v_mfma_f32_16x16x4_f32 a[160+0:163+0], v[vgprValuB_X3_I0+6+0+0], v[vgprValuA_X3_I0+0+0+0+1], a[160:163]
 // Ci += Ai*Br
v_mfma_f32_16x16x4_f32 a[48+0:51+0], v[vgprValuB_X3_I0+6+0+0+1], v141, a[48:51]
 // Cr += -Ai*Bi
v_mfma_f32_16x16x4_f32 a[160+0:163+0], v[vgprValuB_X3_I0+6+0+0+1], v[vgprValuA_X3_I0+0+0+0], a[160:163]
 // Ci += Ar*Bi
v_mfma_f32_16x16x4_f32 a[64+0:67+0], v[vgprValuB_X3_I0+8+0+0], v[vgprValuA_X3_I0+0+0+0], a[64:67]
 // Cr += Ar*Br
v_mfma_f32_16x16x4_f32 a[176+0:179+0], v[vgprValuB_X3_I0+8+0+0], v[vgprValuA_X3_I0+0+0+0+1], a[176:179]
 // Ci += Ai*Br
v_mfma_f32_16x16x4_f32 a[64+0:67+0], v[vgprValuB_X3_I0+8+0+0+1], v141, a[64:67]
 // Cr += -Ai*Bi
v_mfma_f32_16x16x4_f32 a[176+0:179+0], v[vgprValuB_X3_I0+8+0+0+1], v[vgprValuA_X3_I0+0+0+0], a[176:179]
 // Ci += Ar*Bi
v_mfma_f32_16x16x4_f32 a[80+0:83+0], v[vgprValuB_X3_I0+10+0+0], v[vgprValuA_X3_I0+0+0+0], a[80:83]
 // Cr += Ar*Br
v_mfma_f32_16x16x4_f32 a[192+0:195+0], v[vgprValuB_X3_I0+10+0+0], v[vgprValuA_X3_I0+0+0+0+1], a[192:195]
 // Ci += Ai*Br
v_mfma_f32_16x16x4_f32 a[80+0:83+0], v[vgprValuB_X3_I0+10+0+0+1], v141, a[80:83]
 // Cr += -Ai*Bi
v_mfma_f32_16x16x4_f32 a[192+0:195+0], v[vgprValuB_X3_I0+10+0+0+1], v[vgprValuA_X3_I0+0+0+0], a[192:195]
 // Ci += Ar*Bi
v_mfma_f32_16x16x4_f32 a[96+0:99+0], v[vgprValuB_X3_I0+12+0+0], v[vgprValuA_X3_I0+0+0+0], a[96:99]
 // Cr += Ar*Br
v_mfma_f32_16x16x4_f32 a[208+0:211+0], v[vgprValuB_X3_I0+12+0+0], v[vgprValuA_X3_I0+0+0+0+1], a[208:211]
 // Ci += Ai*Br
v_mfma_f32_16x16x4_f32 a[96+0:99+0], v[vgprValuB_X3_I0+12+0+0+1], v141, a[96:99]
 // Cr += -Ai*Bi
v_mfma_f32_16x16x4_f32 a[208+0:211+0], v[vgprValuB_X3_I0+12+0+0+1], v[vgprValuA_X3_I0+0+0+0], a[208:211]
 // Ci += Ar*Bi
v_add_f32 v141, -v[vgprValuA_X3_I0+2+0+0+1], 0     // Ai=-Ai
v_mfma_f32_16x16x4_f32 a[4+0:7+0], v[vgprValuB_X3_I0+0+0+0], v[vgprValuA_X3_I0+2+0+0], a[4:7]
 // Cr += Ar*Br
v_mfma_f32_16x16x4_f32 a[116+0:119+0], v[vgprValuB_X3_I0+0+0+0], v[vgprValuA_X3_I0+2+0+0+1], a[116:119]
 // Ci += Ai*Br
v_mfma_f32_16x16x4_f32 a[4+0:7+0], v[vgprValuB_X3_I0+0+0+0+1], v141, a[4:7]
 // Cr += -Ai*Bi
v_mfma_f32_16x16x4_f32 a[116+0:119+0], v[vgprValuB_X3_I0+0+0+0+1], v[vgprValuA_X3_I0+2+0+0], a[116:119]
 // Ci += Ar*Bi
v_mfma_f32_16x16x4_f32 a[20+0:23+0], v[vgprValuB_X3_I0+2+0+0], v[vgprValuA_X3_I0+2+0+0], a[20:23]
 // Cr += Ar*Br
v_mfma_f32_16x16x4_f32 a[132+0:135+0], v[vgprValuB_X3_I0+2+0+0], v[vgprValuA_X3_I0+2+0+0+1], a[132:135]
 // Ci += Ai*Br
v_mfma_f32_16x16x4_f32 a[20+0:23+0], v[vgprValuB_X3_I0+2+0+0+1], v141, a[20:23]
 // Cr += -Ai*Bi
v_mfma_f32_16x16x4_f32 a[132+0:135+0], v[vgprValuB_X3_I0+2+0+0+1], v[vgprValuA_X3_I0+2+0+0], a[132:135]
 // Ci += Ar*Bi
v_mfma_f32_16x16x4_f32 a[36+0:39+0], v[vgprValuB_X3_I0+4+0+0], v[vgprValuA_X3_I0+2+0+0], a[36:39]
 // Cr += Ar*Br
v_mfma_f32_16x16x4_f32 a[148+0:151+0], v[vgprValuB_X3_I0+4+0+0], v[vgprValuA_X3_I0+2+0+0+1], a[148:151]
 // Ci += Ai*Br
v_mfma_f32_16x16x4_f32 a[36+0:39+0], v[vgprValuB_X3_I0+4+0+0+1], v141, a[36:39]
 // Cr += -Ai*Bi
v_mfma_f32_16x16x4_f32 a[148+0:151+0], v[vgprValuB_X3_I0+4+0+0+1], v[vgprValuA_X3_I0+2+0+0], a[148:151]
 // Ci += Ar*Bi
v_mfma_f32_16x16x4_f32 a[52+0:55+0], v[vgprValuB_X3_I0+6+0+0], v[vgprValuA_X3_I0+2+0+0], a[52:55]
 // Cr += Ar*Br
v_mfma_f32_16x16x4_f32 a[164+0:167+0], v[vgprValuB_X3_I0+6+0+0], v[vgprValuA_X3_I0+2+0+0+1], a[164:167]
 // Ci += Ai*Br
v_mfma_f32_16x16x4_f32 a[52+0:55+0], v[vgprValuB_X3_I0+6+0+0+1], v141, a[52:55]
 // Cr += -Ai*Bi
v_mfma_f32_16x16x4_f32 a[164+0:167+0], v[vgprValuB_X3_I0+6+0+0+1], v[vgprValuA_X3_I0+2+0+0], a[164:167]
 // Ci += Ar*Bi
v_mfma_f32_16x16x4_f32 a[68+0:71+0], v[vgprValuB_X3_I0+8+0+0], v[vgprValuA_X3_I0+2+0+0], a[68:71]
 // Cr += Ar*Br
v_mfma_f32_16x16x4_f32 a[180+0:183+0], v[vgprValuB_X3_I0+8+0+0], v[vgprValuA_X3_I0+2+0+0+1], a[180:183]
 // Ci += Ai*Br
v_mfma_f32_16x16x4_f32 a[68+0:71+0], v[vgprValuB_X3_I0+8+0+0+1], v141, a[68:71]
 // Cr += -Ai*Bi
v_mfma_f32_16x16x4_f32 a[180+0:183+0], v[vgprValuB_X3_I0+8+0+0+1], v[vgprValuA_X3_I0+2+0+0], a[180:183]
 // Ci += Ar*Bi
v_mfma_f32_16x16x4_f32 a[84+0:87+0], v[vgprValuB_X3_I0+10+0+0], v[vgprValuA_X3_I0+2+0+0], a[84:87]
 // Cr += Ar*Br
v_mfma_f32_16x16x4_f32 a[196+0:199+0], v[vgprValuB_X3_I0+10+0+0], v[vgprValuA_X3_I0+2+0+0+1], a[196:199]
 // Ci += Ai*Br
v_mfma_f32_16x16x4_f32 a[84+0:87+0], v[vgprValuB_X3_I0+10+0+0+1], v141, a[84:87]
 // Cr += -Ai*Bi
v_mfma_f32_16x16x4_f32 a[196+0:199+0], v[vgprValuB_X3_I0+10+0+0+1], v[vgprValuA_X3_I0+2+0+0], a[196:199]
 // Ci += Ar*Bi
v_mfma_f32_16x16x4_f32 a[100+0:103+0], v[vgprValuB_X3_I0+12+0+0], v[vgprValuA_X3_I0+2+0+0], a[100:103]
 // Cr += Ar*Br
v_mfma_f32_16x16x4_f32 a[212+0:215+0], v[vgprValuB_X3_I0+12+0+0], v[vgprValuA_X3_I0+2+0+0+1], a[212:215]
 // Ci += Ai*Br
v_mfma_f32_16x16x4_f32 a[100+0:103+0], v[vgprValuB_X3_I0+12+0+0+1], v141, a[100:103]
 // Cr += -Ai*Bi
v_mfma_f32_16x16x4_f32 a[212+0:215+0], v[vgprValuB_X3_I0+12+0+0+1], v[vgprValuA_X3_I0+2+0+0], a[212:215]
 // Ci += Ar*Bi
	;; [unrolled: 57-line block ×4, first 2 shown]


/* closeLoop loopL finalLoop=1 tailLoop=1 */
s_sub_i32 s[sgprLoopCounterL], s[sgprLoopCounterL], 0x4 // dec counterL (tailLoop)
s_add_u32 s[sgprOrigLoopCounter], s[sgprOrigLoopCounter], 0x4 // inc counterL
s_cmp_le_i32 s[sgprLoopCounterL], 0x0              // counterL<=0
s_cbranch_scc0 TailLoopBeginL_6                    // restart LoopL
TailLoopEndL_7:

SkipTailLoopL_8:

Summation_End_30:
s_setprio 0                                        // optimization store
/* endSummation: add vgpr [0...138) to pool */
.set NumFullBlocks, UNDEF
.set WgmRemainder1, UNDEF
.set MagicNumberWgmRemainder1, UNDEF
.set ScalarGlobalReadOffsetA, UNDEF
.set ScalarGlobalReadOffsetB, UNDEF

/* Mapping of Acc register -> C Vgpr register */


	;; [unrolled: 1-line block ×3, first 2 shown]
/* not-LocalSplitU: global write indices */

/* computeStoreVgprs */
v_lshrrev_b32 v4, 6, v[vgprSerial]                 // v4 = v[vgprSerial] / 64
v_and_b32 v1, 63, v[vgprSerial]                    // v1 = v[vgprSerial] % 64
v_lshrrev_b32 v1, 4, v1                            // v1 = v1 / 16
v_lshlrev_b32 v1, 0x2, v1                          // thread0 * continuous_output
v_lshrrev_b32 v5, 2, v4                            // v5 = v4 / 4
v_mul_lo_u32 v5, 0x10, v5                          // wave coordination offset 1
_v_add_lshl_u32 v1, v5, v1, 0                      // coordination 1 = vwb *(wave_id1 + tid1)
v_mul_lo_u32 v2, v1, s[sgprStrideC1J]              //  offset 1
v_mul_lo_u32 v3, v1, s[sgprStrideD1J]              //  offset 1
v_and_b32 v5, 3, v4                                // v5 = v4 % 4
v_mul_lo_u32 v5, 0x10, v5                          // wave coordination offset 0
v_and_b32 v0, 15, v[vgprSerial]                    // v0 = v[vgprSerial] % 16
_v_add_lshl_u32 v0, v5, v0, 1                      // coordination 0 = vwa *(wave_id0 + tid0)
s_mul_i32 s55, 256, s[sgprWorkGroup0]              // wgp0 * MT0
_v_add_u32 v0, s55, v0                             // coord 0 = (tid0/MI_m)*4 + waveG0*MIB_m + MT0*SG0
s_mul_i32 s55, 112, s[sgprWorkGroup1]              // wgp1 * MT1
_v_add_u32 v1, s55, v1                             // coord 1 = (tid0%MI_m) + waveG1*MIB_n + MT1*SG1


/* not-LocalSplitU: global write */

s_mov_b32 s55, s[sgprBeta+0]                       // tmp = Beta[0]
s_or_b32 s55, s[sgprBeta+1], s55                   // tmp |= Beta[1] 
s_cmpk_eq_u32 s55, 0x0                             // Beta == 0
s_cbranch_scc0 GW_Beta_45                          // Branch if Beta is not zero

s_and_b32 s56, 255, s[sgprSizeI]                   // s56 = s[sgprSizeI] % 256
s_add_u32 s57, -0x1, s[sgprNumWorkGroups0]         // 
s_cmp_ge_u32 s[sgprWorkGroup0], s57                // wg0 >= nwg0-1 ?
s_cselect_b32 s56, s56, 0                          // set rMT0
s_cmpk_gt_u32 s56, 0x0                             // rMT0 > 0
s_cbranch_scc1 GW_B0_E1_36                         // jump if edges required
s_mov_b32 s59, 0x0                                 // STATIC_DIV: divisior=112
s_mul_i32 s58, 0x492, s[sgprSizeJ]                 // tmp1 = dividend * magic hi
s_lshl_b64 s[58:59], s[58:59], 0x10                // left shift 16 bits
s_mul_i32 s57, s[sgprSizeJ], 0x4925                // tmp0 = dividend * magic lo
s_add_u32 s58, s57, s58                            // add lo
s_addc_u32 s59, s59, 0x0                           // add hi
s_lshr_b64 s[58:59], s[58:59], 0x21                // tmp1 = (dividend * magic) << shift
s_mov_b32 s57, s58                                 // quotient
s_mul_i32 s58, s57, 0x70                           // quotient*divisor
s_sub_u32 s56, s[sgprSizeJ], s58                   // rReg = dividend - quotient*divisor
s_add_u32 s57, -0x1, s[sgprNumWorkGroups1]         // 
s_cmp_ge_u32 s[sgprWorkGroup1], s57                // wg1 >= nwg1-1
s_cselect_b32 s56, s56, 0                          // set rMT1
s_cmpk_gt_u32 s56, 0x0                             // rMT1 > 0
s_cbranch_scc1 GW_B0_E1_36                         // jump if edges required
GW_B0_E0_33:

/* edge=0, allocate 2 sgpr. perBatchTmpS=2 perBatchMaskS=0 perElementMaskS=0 elementsPerBatch=4 */
/* optSingleColVgpr=1 optSharedColVgpr=0 optSGPRUsage=BufferLoad_Mask optSrdIncForRow=1 */
s_sleep 3 // optimization: sync and wait
s_barrier

/******************************************/
/* Global Write Alpha Batch #0 (d1,d0,vc1,vc0) = */
/*    (0,0,0,0:vw2); (0,1,0,0:vw2); (0,0,1,0:vw2); (0,1,1,0:vw2) */
/******************************************/

/* calc coords, apply mask, and issue loads (if necessary) */
/* (d1,vc1,d0,vc0)=(0,0,0,0) */
/* (d1,vc1,d0,vc0)=(0,0,1,0) */
/* (d1,vc1,d0,vc0)=(0,1,0,0) */
/* (d1,vc1,d0,vc0)=(0,1,1,0) */
_v_add_lshl_u32 v6, v3, v0, 0x3                    // optSingleColVgpr scaleToBpe: sharedAddrVgpr <- cinRowPtr + coord0, scaled by BPE. BSHERE:coord0=0, coord0Vgpr=0
v_accvgpr_read_b32 v[vgprValuC+8], acc0 // copy acc to vreg[0]
v_accvgpr_read_b32 v[vgprValuC+9], acc112 // copy acc to vreg[1]
v_accvgpr_read_b32 v[vgprValuC+10], acc4 // copy acc to vreg[2]
v_accvgpr_read_b32 v[vgprValuC+11], acc116 // copy acc to vreg[3]
v_accvgpr_read_b32 v[vgprValuC+12], acc8 // copy acc to vreg[4]
v_accvgpr_read_b32 v[vgprValuC+13], acc120 // copy acc to vreg[5]
v_accvgpr_read_b32 v[vgprValuC+14], acc12 // copy acc to vreg[6]
v_accvgpr_read_b32 v[vgprValuC+15], acc124 // copy acc to vreg[7]
v_accvgpr_read_b32 v[vgprValuC+16], acc1 // copy acc to vreg[8]
v_accvgpr_read_b32 v[vgprValuC+17], acc113 // copy acc to vreg[9]
v_accvgpr_read_b32 v[vgprValuC+18], acc5 // copy acc to vreg[10]
v_accvgpr_read_b32 v[vgprValuC+19], acc117 // copy acc to vreg[11]
v_accvgpr_read_b32 v[vgprValuC+20], acc9 // copy acc to vreg[12]
v_accvgpr_read_b32 v[vgprValuC+21], acc121 // copy acc to vreg[13]
v_accvgpr_read_b32 v[vgprValuC+22], acc13 // copy acc to vreg[14]
v_accvgpr_read_b32 v[vgprValuC+23], acc125 // copy acc to vreg[15]
s_nop 1                                            // 2 wait states required before reading vgpr

/* rC *= alpha batchElements=[(0, 0, 0, 0), (0, 1, 0, 0), (0, 0, 1, 0), (0, 1, 1, 0)] */
v_mov_b32 v24, v[vgprValuC+8]                      // store Cr
v_mul_f32 v[vgprValuC+8], s[sgprAlpha], v[vgprValuC+8] // *= alpha ( Cr = Ar * Cr)
_v_mac_f32 v[vgprValuC+8], -s[sgprAlpha+1], v[vgprValuC+9] // *= alpha ( Cr += -Ai * Ci )
v_mul_f32 v[vgprValuC+9], s[sgprAlpha], v[vgprValuC+9] // *= alpha ( Ci = Ar * Ci)
_v_mac_f32 v[vgprValuC+9], s[sgprAlpha+1], v24     // *= alpha ( Ci += Ai * Cr_backup )
v_mov_b32 v24, v[vgprValuC+10]                     // store Cr
v_mul_f32 v[vgprValuC+10], s[sgprAlpha], v[vgprValuC+10] // *= alpha ( Cr = Ar * Cr)
_v_mac_f32 v[vgprValuC+10], -s[sgprAlpha+1], v[vgprValuC+11] // *= alpha ( Cr += -Ai * Ci )
v_mul_f32 v[vgprValuC+11], s[sgprAlpha], v[vgprValuC+11] // *= alpha ( Ci = Ar * Ci)
_v_mac_f32 v[vgprValuC+11], s[sgprAlpha+1], v24    // *= alpha ( Ci += Ai * Cr_backup )
v_mov_b32 v24, v[vgprValuC+12]                     // store Cr
v_mul_f32 v[vgprValuC+12], s[sgprAlpha], v[vgprValuC+12] // *= alpha ( Cr = Ar * Cr)
_v_mac_f32 v[vgprValuC+12], -s[sgprAlpha+1], v[vgprValuC+13] // *= alpha ( Cr += -Ai * Ci )
v_mul_f32 v[vgprValuC+13], s[sgprAlpha], v[vgprValuC+13] // *= alpha ( Ci = Ar * Ci)
_v_mac_f32 v[vgprValuC+13], s[sgprAlpha+1], v24    // *= alpha ( Ci += Ai * Cr_backup )
	;; [unrolled: 5-line block ×7, first 2 shown]

/* apply mask, calc new C and issue writes */
_buffer_store_b128 v[8:11], v6, s[sgprSrdD:sgprSrdD+3], 0, offen, offset:0,  nt // store D
_buffer_store_b128 v[12:15], v6, s[sgprSrdD:sgprSrdD+3], 0, offen, offset:1024,  nt // store D
s_lshl_b32  s56, s[sgprStrideD1J], 3               // incToNextRow: Scale by BPE
s_add_u32  s[sgprSrdD+0], s[sgprSrdD+0], s56       // incToNextRow: gra SRD += inc(lower)
s_addc_u32  s[sgprSrdD+1], s[sgprSrdD+1], 0        // incToNextRow: gra SRD += inc(upper)
_buffer_store_b128 v[16:19], v6, s[sgprSrdD:sgprSrdD+3], 0, offen, offset:0,  nt // store D
_buffer_store_b128 v[20:23], v6, s[sgprSrdD:sgprSrdD+3], 0, offen, offset:1024,  nt // store D
s_nop 0                                            // 1 wait state required when next inst writes vgprs held by previous dwordx4 store inst
/* optSingleColVgpr=1 optSharedColVgpr=0 optSGPRUsage=BufferLoad_Mask optSrdIncForRow=1 */
s_sleep 3 // optimization: sync and wait
s_barrier

/******************************************/
/* Global Write Alpha Batch #1 (d1,d0,vc1,vc0) = */
/*    (0,0,2,0:vw2); (0,1,2,0:vw2); (0,0,3,0:vw2); (0,1,3,0:vw2) */
/******************************************/

/* calc coords, apply mask, and issue loads (if necessary) */
/* (d1,vc1,d0,vc0)=(0,2,0,0) */
/* (d1,vc1,d0,vc0)=(0,2,1,0) */
	;; [unrolled: 1-line block ×4, first 2 shown]
v_accvgpr_read_b32 v[vgprValuC+8], acc2 // copy acc to vreg[16]
v_accvgpr_read_b32 v[vgprValuC+9], acc114 // copy acc to vreg[17]
v_accvgpr_read_b32 v[vgprValuC+10], acc6 // copy acc to vreg[18]
v_accvgpr_read_b32 v[vgprValuC+11], acc118 // copy acc to vreg[19]
v_accvgpr_read_b32 v[vgprValuC+12], acc10 // copy acc to vreg[20]
v_accvgpr_read_b32 v[vgprValuC+13], acc122 // copy acc to vreg[21]
v_accvgpr_read_b32 v[vgprValuC+14], acc14 // copy acc to vreg[22]
v_accvgpr_read_b32 v[vgprValuC+15], acc126 // copy acc to vreg[23]
v_accvgpr_read_b32 v[vgprValuC+16], acc3 // copy acc to vreg[24]
v_accvgpr_read_b32 v[vgprValuC+17], acc115 // copy acc to vreg[25]
v_accvgpr_read_b32 v[vgprValuC+18], acc7 // copy acc to vreg[26]
v_accvgpr_read_b32 v[vgprValuC+19], acc119 // copy acc to vreg[27]
v_accvgpr_read_b32 v[vgprValuC+20], acc11 // copy acc to vreg[28]
v_accvgpr_read_b32 v[vgprValuC+21], acc123 // copy acc to vreg[29]
v_accvgpr_read_b32 v[vgprValuC+22], acc15 // copy acc to vreg[30]
v_accvgpr_read_b32 v[vgprValuC+23], acc127 // copy acc to vreg[31]
s_nop 1                                            // 2 wait states required before reading vgpr

/* rC *= alpha batchElements=[(0, 0, 2, 0), (0, 1, 2, 0), (0, 0, 3, 0), (0, 1, 3, 0)] */
v_mov_b32 v24, v[vgprValuC+8]                      // store Cr
v_mul_f32 v[vgprValuC+8], s[sgprAlpha], v[vgprValuC+8] // *= alpha ( Cr = Ar * Cr)
_v_mac_f32 v[vgprValuC+8], -s[sgprAlpha+1], v[vgprValuC+9] // *= alpha ( Cr += -Ai * Ci )
v_mul_f32 v[vgprValuC+9], s[sgprAlpha], v[vgprValuC+9] // *= alpha ( Ci = Ar * Ci)
_v_mac_f32 v[vgprValuC+9], s[sgprAlpha+1], v24     // *= alpha ( Ci += Ai * Cr_backup )
v_mov_b32 v24, v[vgprValuC+10]                     // store Cr
v_mul_f32 v[vgprValuC+10], s[sgprAlpha], v[vgprValuC+10] // *= alpha ( Cr = Ar * Cr)
_v_mac_f32 v[vgprValuC+10], -s[sgprAlpha+1], v[vgprValuC+11] // *= alpha ( Cr += -Ai * Ci )
v_mul_f32 v[vgprValuC+11], s[sgprAlpha], v[vgprValuC+11] // *= alpha ( Ci = Ar * Ci)
_v_mac_f32 v[vgprValuC+11], s[sgprAlpha+1], v24    // *= alpha ( Ci += Ai * Cr_backup )
v_mov_b32 v24, v[vgprValuC+12]                     // store Cr
v_mul_f32 v[vgprValuC+12], s[sgprAlpha], v[vgprValuC+12] // *= alpha ( Cr = Ar * Cr)
_v_mac_f32 v[vgprValuC+12], -s[sgprAlpha+1], v[vgprValuC+13] // *= alpha ( Cr += -Ai * Ci )
v_mul_f32 v[vgprValuC+13], s[sgprAlpha], v[vgprValuC+13] // *= alpha ( Ci = Ar * Ci)
_v_mac_f32 v[vgprValuC+13], s[sgprAlpha+1], v24    // *= alpha ( Ci += Ai * Cr_backup )
	;; [unrolled: 5-line block ×7, first 2 shown]

/* apply mask, calc new C and issue writes */
s_lshl_b32  s56, s[sgprStrideD1J], 3               // incToNextRow: Scale by BPE
s_add_u32  s[sgprSrdD+0], s[sgprSrdD+0], s56       // incToNextRow: gra SRD += inc(lower)
s_addc_u32  s[sgprSrdD+1], s[sgprSrdD+1], 0        // incToNextRow: gra SRD += inc(upper)
_buffer_store_b128 v[8:11], v6, s[sgprSrdD:sgprSrdD+3], 0, offen, offset:0,  nt // store D
_buffer_store_b128 v[12:15], v6, s[sgprSrdD:sgprSrdD+3], 0, offen, offset:1024,  nt // store D
s_lshl_b32  s56, s[sgprStrideD1J], 3               // incToNextRow: Scale by BPE
s_add_u32  s[sgprSrdD+0], s[sgprSrdD+0], s56       // incToNextRow: gra SRD += inc(lower)
s_addc_u32  s[sgprSrdD+1], s[sgprSrdD+1], 0        // incToNextRow: gra SRD += inc(upper)
_buffer_store_b128 v[16:19], v6, s[sgprSrdD:sgprSrdD+3], 0, offen, offset:0,  nt // store D
_buffer_store_b128 v[20:23], v6, s[sgprSrdD:sgprSrdD+3], 0, offen, offset:1024,  nt // store D
s_nop 0                                            // 1 wait state required when next inst writes vgprs held by previous dwordx4 store inst
/* optSingleColVgpr=1 optSharedColVgpr=0 optSGPRUsage=BufferLoad_Mask optSrdIncForRow=1 */
s_sleep 3 // optimization: sync and wait
s_barrier

/******************************************/
/* Global Write Alpha Batch #2 (d1,d0,vc1,vc0) = */
/*    (1,0,0,0:vw2); (1,1,0,0:vw2); (1,0,1,0:vw2); (1,1,1,0:vw2) */
/******************************************/

/* calc coords, apply mask, and issue loads (if necessary) */
/* (d1,vc1,d0,vc0)=(1,0,0,0) */
/* (d1,vc1,d0,vc0)=(1,0,1,0) */
	;; [unrolled: 1-line block ×4, first 2 shown]
v_accvgpr_read_b32 v[vgprValuC+8], acc16 // copy acc to vreg[32]
v_accvgpr_read_b32 v[vgprValuC+9], acc128 // copy acc to vreg[33]
v_accvgpr_read_b32 v[vgprValuC+10], acc20 // copy acc to vreg[34]
v_accvgpr_read_b32 v[vgprValuC+11], acc132 // copy acc to vreg[35]
v_accvgpr_read_b32 v[vgprValuC+12], acc24 // copy acc to vreg[36]
v_accvgpr_read_b32 v[vgprValuC+13], acc136 // copy acc to vreg[37]
v_accvgpr_read_b32 v[vgprValuC+14], acc28 // copy acc to vreg[38]
v_accvgpr_read_b32 v[vgprValuC+15], acc140 // copy acc to vreg[39]
v_accvgpr_read_b32 v[vgprValuC+16], acc17 // copy acc to vreg[40]
v_accvgpr_read_b32 v[vgprValuC+17], acc129 // copy acc to vreg[41]
v_accvgpr_read_b32 v[vgprValuC+18], acc21 // copy acc to vreg[42]
v_accvgpr_read_b32 v[vgprValuC+19], acc133 // copy acc to vreg[43]
v_accvgpr_read_b32 v[vgprValuC+20], acc25 // copy acc to vreg[44]
v_accvgpr_read_b32 v[vgprValuC+21], acc137 // copy acc to vreg[45]
v_accvgpr_read_b32 v[vgprValuC+22], acc29 // copy acc to vreg[46]
v_accvgpr_read_b32 v[vgprValuC+23], acc141 // copy acc to vreg[47]
s_nop 1                                            // 2 wait states required before reading vgpr

/* rC *= alpha batchElements=[(1, 0, 0, 0), (1, 1, 0, 0), (1, 0, 1, 0), (1, 1, 1, 0)] */
v_mov_b32 v24, v[vgprValuC+8]                      // store Cr
v_mul_f32 v[vgprValuC+8], s[sgprAlpha], v[vgprValuC+8] // *= alpha ( Cr = Ar * Cr)
_v_mac_f32 v[vgprValuC+8], -s[sgprAlpha+1], v[vgprValuC+9] // *= alpha ( Cr += -Ai * Ci )
v_mul_f32 v[vgprValuC+9], s[sgprAlpha], v[vgprValuC+9] // *= alpha ( Ci = Ar * Ci)
_v_mac_f32 v[vgprValuC+9], s[sgprAlpha+1], v24     // *= alpha ( Ci += Ai * Cr_backup )
v_mov_b32 v24, v[vgprValuC+10]                     // store Cr
v_mul_f32 v[vgprValuC+10], s[sgprAlpha], v[vgprValuC+10] // *= alpha ( Cr = Ar * Cr)
_v_mac_f32 v[vgprValuC+10], -s[sgprAlpha+1], v[vgprValuC+11] // *= alpha ( Cr += -Ai * Ci )
v_mul_f32 v[vgprValuC+11], s[sgprAlpha], v[vgprValuC+11] // *= alpha ( Ci = Ar * Ci)
_v_mac_f32 v[vgprValuC+11], s[sgprAlpha+1], v24    // *= alpha ( Ci += Ai * Cr_backup )
v_mov_b32 v24, v[vgprValuC+12]                     // store Cr
v_mul_f32 v[vgprValuC+12], s[sgprAlpha], v[vgprValuC+12] // *= alpha ( Cr = Ar * Cr)
_v_mac_f32 v[vgprValuC+12], -s[sgprAlpha+1], v[vgprValuC+13] // *= alpha ( Cr += -Ai * Ci )
v_mul_f32 v[vgprValuC+13], s[sgprAlpha], v[vgprValuC+13] // *= alpha ( Ci = Ar * Ci)
_v_mac_f32 v[vgprValuC+13], s[sgprAlpha+1], v24    // *= alpha ( Ci += Ai * Cr_backup )
	;; [unrolled: 5-line block ×7, first 2 shown]

/* apply mask, calc new C and issue writes */
s_mul_i32 s56, s[sgprStrideD1J], 104               // scale StrideD *= numRows(13) * bpe
s_add_u32  s[sgprSrdD+0], s[sgprSrdD+0], s56       // incToNextRow: gra SRD += inc(lower)
s_addc_u32  s[sgprSrdD+1], s[sgprSrdD+1], 0        // incToNextRow: gra SRD += inc(upper)
_buffer_store_b128 v[8:11], v6, s[sgprSrdD:sgprSrdD+3], 0, offen, offset:0,  nt // store D
_buffer_store_b128 v[12:15], v6, s[sgprSrdD:sgprSrdD+3], 0, offen, offset:1024,  nt // store D
s_lshl_b32  s56, s[sgprStrideD1J], 3               // incToNextRow: Scale by BPE
s_add_u32  s[sgprSrdD+0], s[sgprSrdD+0], s56       // incToNextRow: gra SRD += inc(lower)
s_addc_u32  s[sgprSrdD+1], s[sgprSrdD+1], 0        // incToNextRow: gra SRD += inc(upper)
_buffer_store_b128 v[16:19], v6, s[sgprSrdD:sgprSrdD+3], 0, offen, offset:0,  nt // store D
_buffer_store_b128 v[20:23], v6, s[sgprSrdD:sgprSrdD+3], 0, offen, offset:1024,  nt // store D
s_nop 0                                            // 1 wait state required when next inst writes vgprs held by previous dwordx4 store inst
/* optSingleColVgpr=1 optSharedColVgpr=0 optSGPRUsage=BufferLoad_Mask optSrdIncForRow=1 */
s_sleep 3 // optimization: sync and wait
s_barrier

/******************************************/
/* Global Write Alpha Batch #3 (d1,d0,vc1,vc0) = */
/*    (1,0,2,0:vw2); (1,1,2,0:vw2); (1,0,3,0:vw2); (1,1,3,0:vw2) */
/******************************************/

/* calc coords, apply mask, and issue loads (if necessary) */
/* (d1,vc1,d0,vc0)=(1,2,0,0) */
/* (d1,vc1,d0,vc0)=(1,2,1,0) */
	;; [unrolled: 1-line block ×4, first 2 shown]
v_accvgpr_read_b32 v[vgprValuC+8], acc18 // copy acc to vreg[48]
v_accvgpr_read_b32 v[vgprValuC+9], acc130 // copy acc to vreg[49]
v_accvgpr_read_b32 v[vgprValuC+10], acc22 // copy acc to vreg[50]
v_accvgpr_read_b32 v[vgprValuC+11], acc134 // copy acc to vreg[51]
v_accvgpr_read_b32 v[vgprValuC+12], acc26 // copy acc to vreg[52]
v_accvgpr_read_b32 v[vgprValuC+13], acc138 // copy acc to vreg[53]
v_accvgpr_read_b32 v[vgprValuC+14], acc30 // copy acc to vreg[54]
v_accvgpr_read_b32 v[vgprValuC+15], acc142 // copy acc to vreg[55]
v_accvgpr_read_b32 v[vgprValuC+16], acc19 // copy acc to vreg[56]
v_accvgpr_read_b32 v[vgprValuC+17], acc131 // copy acc to vreg[57]
v_accvgpr_read_b32 v[vgprValuC+18], acc23 // copy acc to vreg[58]
v_accvgpr_read_b32 v[vgprValuC+19], acc135 // copy acc to vreg[59]
v_accvgpr_read_b32 v[vgprValuC+20], acc27 // copy acc to vreg[60]
v_accvgpr_read_b32 v[vgprValuC+21], acc139 // copy acc to vreg[61]
v_accvgpr_read_b32 v[vgprValuC+22], acc31 // copy acc to vreg[62]
v_accvgpr_read_b32 v[vgprValuC+23], acc143 // copy acc to vreg[63]
s_nop 1                                            // 2 wait states required before reading vgpr

/* rC *= alpha batchElements=[(1, 0, 2, 0), (1, 1, 2, 0), (1, 0, 3, 0), (1, 1, 3, 0)] */
v_mov_b32 v24, v[vgprValuC+8]                      // store Cr
v_mul_f32 v[vgprValuC+8], s[sgprAlpha], v[vgprValuC+8] // *= alpha ( Cr = Ar * Cr)
_v_mac_f32 v[vgprValuC+8], -s[sgprAlpha+1], v[vgprValuC+9] // *= alpha ( Cr += -Ai * Ci )
v_mul_f32 v[vgprValuC+9], s[sgprAlpha], v[vgprValuC+9] // *= alpha ( Ci = Ar * Ci)
_v_mac_f32 v[vgprValuC+9], s[sgprAlpha+1], v24     // *= alpha ( Ci += Ai * Cr_backup )
v_mov_b32 v24, v[vgprValuC+10]                     // store Cr
v_mul_f32 v[vgprValuC+10], s[sgprAlpha], v[vgprValuC+10] // *= alpha ( Cr = Ar * Cr)
_v_mac_f32 v[vgprValuC+10], -s[sgprAlpha+1], v[vgprValuC+11] // *= alpha ( Cr += -Ai * Ci )
v_mul_f32 v[vgprValuC+11], s[sgprAlpha], v[vgprValuC+11] // *= alpha ( Ci = Ar * Ci)
_v_mac_f32 v[vgprValuC+11], s[sgprAlpha+1], v24    // *= alpha ( Ci += Ai * Cr_backup )
v_mov_b32 v24, v[vgprValuC+12]                     // store Cr
v_mul_f32 v[vgprValuC+12], s[sgprAlpha], v[vgprValuC+12] // *= alpha ( Cr = Ar * Cr)
_v_mac_f32 v[vgprValuC+12], -s[sgprAlpha+1], v[vgprValuC+13] // *= alpha ( Cr += -Ai * Ci )
v_mul_f32 v[vgprValuC+13], s[sgprAlpha], v[vgprValuC+13] // *= alpha ( Ci = Ar * Ci)
_v_mac_f32 v[vgprValuC+13], s[sgprAlpha+1], v24    // *= alpha ( Ci += Ai * Cr_backup )
v_mov_b32 v24, v[vgprValuC+14]                     // store Cr
v_mul_f32 v[vgprValuC+14], s[sgprAlpha], v[vgprValuC+14] // *= alpha ( Cr = Ar * Cr)
_v_mac_f32 v[vgprValuC+14], -s[sgprAlpha+1], v[vgprValuC+15] // *= alpha ( Cr += -Ai * Ci )
v_mul_f32 v[vgprValuC+15], s[sgprAlpha], v[vgprValuC+15] // *= alpha ( Ci = Ar * Ci)
_v_mac_f32 v[vgprValuC+15], s[sgprAlpha+1], v24    // *= alpha ( Ci += Ai * Cr_backup )
v_mov_b32 v24, v[vgprValuC+16]                     // store Cr
v_mul_f32 v[vgprValuC+16], s[sgprAlpha], v[vgprValuC+16] // *= alpha ( Cr = Ar * Cr)
_v_mac_f32 v[vgprValuC+16], -s[sgprAlpha+1], v[vgprValuC+17] // *= alpha ( Cr += -Ai * Ci )
v_mul_f32 v[vgprValuC+17], s[sgprAlpha], v[vgprValuC+17] // *= alpha ( Ci = Ar * Ci)
_v_mac_f32 v[vgprValuC+17], s[sgprAlpha+1], v24    // *= alpha ( Ci += Ai * Cr_backup )
v_mov_b32 v24, v[vgprValuC+18]                     // store Cr
v_mul_f32 v[vgprValuC+18], s[sgprAlpha], v[vgprValuC+18] // *= alpha ( Cr = Ar * Cr)
_v_mac_f32 v[vgprValuC+18], -s[sgprAlpha+1], v[vgprValuC+19] // *= alpha ( Cr += -Ai * Ci )
v_mul_f32 v[vgprValuC+19], s[sgprAlpha], v[vgprValuC+19] // *= alpha ( Ci = Ar * Ci)
_v_mac_f32 v[vgprValuC+19], s[sgprAlpha+1], v24    // *= alpha ( Ci += Ai * Cr_backup )
v_mov_b32 v24, v[vgprValuC+20]                     // store Cr
v_mul_f32 v[vgprValuC+20], s[sgprAlpha], v[vgprValuC+20] // *= alpha ( Cr = Ar * Cr)
_v_mac_f32 v[vgprValuC+20], -s[sgprAlpha+1], v[vgprValuC+21] // *= alpha ( Cr += -Ai * Ci )
v_mul_f32 v[vgprValuC+21], s[sgprAlpha], v[vgprValuC+21] // *= alpha ( Ci = Ar * Ci)
_v_mac_f32 v[vgprValuC+21], s[sgprAlpha+1], v24    // *= alpha ( Ci += Ai * Cr_backup )
v_mov_b32 v24, v[vgprValuC+22]                     // store Cr
v_mul_f32 v[vgprValuC+22], s[sgprAlpha], v[vgprValuC+22] // *= alpha ( Cr = Ar * Cr)
_v_mac_f32 v[vgprValuC+22], -s[sgprAlpha+1], v[vgprValuC+23] // *= alpha ( Cr += -Ai * Ci )
v_mul_f32 v[vgprValuC+23], s[sgprAlpha], v[vgprValuC+23] // *= alpha ( Ci = Ar * Ci)
_v_mac_f32 v[vgprValuC+23], s[sgprAlpha+1], v24    // *= alpha ( Ci += Ai * Cr_backup )

/* apply mask, calc new C and issue writes */
s_lshl_b32  s56, s[sgprStrideD1J], 3               // incToNextRow: Scale by BPE
s_add_u32  s[sgprSrdD+0], s[sgprSrdD+0], s56       // incToNextRow: gra SRD += inc(lower)
s_addc_u32  s[sgprSrdD+1], s[sgprSrdD+1], 0        // incToNextRow: gra SRD += inc(upper)
_buffer_store_b128 v[8:11], v6, s[sgprSrdD:sgprSrdD+3], 0, offen, offset:0,  nt // store D
_buffer_store_b128 v[12:15], v6, s[sgprSrdD:sgprSrdD+3], 0, offen, offset:1024,  nt // store D
s_lshl_b32  s56, s[sgprStrideD1J], 3               // incToNextRow: Scale by BPE
s_add_u32  s[sgprSrdD+0], s[sgprSrdD+0], s56       // incToNextRow: gra SRD += inc(lower)
s_addc_u32  s[sgprSrdD+1], s[sgprSrdD+1], 0        // incToNextRow: gra SRD += inc(upper)
_buffer_store_b128 v[16:19], v6, s[sgprSrdD:sgprSrdD+3], 0, offen, offset:0,  nt // store D
_buffer_store_b128 v[20:23], v6, s[sgprSrdD:sgprSrdD+3], 0, offen, offset:1024,  nt // store D
s_nop 0                                            // 1 wait state required when next inst writes vgprs held by previous dwordx4 store inst
/* optSingleColVgpr=1 optSharedColVgpr=0 optSGPRUsage=BufferLoad_Mask optSrdIncForRow=1 */
s_sleep 3 // optimization: sync and wait
s_barrier

/******************************************/
/* Global Write Alpha Batch #4 (d1,d0,vc1,vc0) = */
/*    (2,0,0,0:vw2); (2,1,0,0:vw2); (2,0,1,0:vw2); (2,1,1,0:vw2) */
/******************************************/

/* calc coords, apply mask, and issue loads (if necessary) */
/* (d1,vc1,d0,vc0)=(2,0,0,0) */
/* (d1,vc1,d0,vc0)=(2,0,1,0) */
	;; [unrolled: 1-line block ×4, first 2 shown]
v_accvgpr_read_b32 v[vgprValuC+8], acc32 // copy acc to vreg[64]
v_accvgpr_read_b32 v[vgprValuC+9], acc144 // copy acc to vreg[65]
v_accvgpr_read_b32 v[vgprValuC+10], acc36 // copy acc to vreg[66]
v_accvgpr_read_b32 v[vgprValuC+11], acc148 // copy acc to vreg[67]
v_accvgpr_read_b32 v[vgprValuC+12], acc40 // copy acc to vreg[68]
v_accvgpr_read_b32 v[vgprValuC+13], acc152 // copy acc to vreg[69]
v_accvgpr_read_b32 v[vgprValuC+14], acc44 // copy acc to vreg[70]
v_accvgpr_read_b32 v[vgprValuC+15], acc156 // copy acc to vreg[71]
v_accvgpr_read_b32 v[vgprValuC+16], acc33 // copy acc to vreg[72]
v_accvgpr_read_b32 v[vgprValuC+17], acc145 // copy acc to vreg[73]
v_accvgpr_read_b32 v[vgprValuC+18], acc37 // copy acc to vreg[74]
v_accvgpr_read_b32 v[vgprValuC+19], acc149 // copy acc to vreg[75]
v_accvgpr_read_b32 v[vgprValuC+20], acc41 // copy acc to vreg[76]
v_accvgpr_read_b32 v[vgprValuC+21], acc153 // copy acc to vreg[77]
v_accvgpr_read_b32 v[vgprValuC+22], acc45 // copy acc to vreg[78]
v_accvgpr_read_b32 v[vgprValuC+23], acc157 // copy acc to vreg[79]
s_nop 1                                            // 2 wait states required before reading vgpr

/* rC *= alpha batchElements=[(2, 0, 0, 0), (2, 1, 0, 0), (2, 0, 1, 0), (2, 1, 1, 0)] */
v_mov_b32 v24, v[vgprValuC+8]                      // store Cr
v_mul_f32 v[vgprValuC+8], s[sgprAlpha], v[vgprValuC+8] // *= alpha ( Cr = Ar * Cr)
_v_mac_f32 v[vgprValuC+8], -s[sgprAlpha+1], v[vgprValuC+9] // *= alpha ( Cr += -Ai * Ci )
v_mul_f32 v[vgprValuC+9], s[sgprAlpha], v[vgprValuC+9] // *= alpha ( Ci = Ar * Ci)
_v_mac_f32 v[vgprValuC+9], s[sgprAlpha+1], v24     // *= alpha ( Ci += Ai * Cr_backup )
v_mov_b32 v24, v[vgprValuC+10]                     // store Cr
v_mul_f32 v[vgprValuC+10], s[sgprAlpha], v[vgprValuC+10] // *= alpha ( Cr = Ar * Cr)
_v_mac_f32 v[vgprValuC+10], -s[sgprAlpha+1], v[vgprValuC+11] // *= alpha ( Cr += -Ai * Ci )
v_mul_f32 v[vgprValuC+11], s[sgprAlpha], v[vgprValuC+11] // *= alpha ( Ci = Ar * Ci)
_v_mac_f32 v[vgprValuC+11], s[sgprAlpha+1], v24    // *= alpha ( Ci += Ai * Cr_backup )
v_mov_b32 v24, v[vgprValuC+12]                     // store Cr
v_mul_f32 v[vgprValuC+12], s[sgprAlpha], v[vgprValuC+12] // *= alpha ( Cr = Ar * Cr)
_v_mac_f32 v[vgprValuC+12], -s[sgprAlpha+1], v[vgprValuC+13] // *= alpha ( Cr += -Ai * Ci )
v_mul_f32 v[vgprValuC+13], s[sgprAlpha], v[vgprValuC+13] // *= alpha ( Ci = Ar * Ci)
_v_mac_f32 v[vgprValuC+13], s[sgprAlpha+1], v24    // *= alpha ( Ci += Ai * Cr_backup )
v_mov_b32 v24, v[vgprValuC+14]                     // store Cr
v_mul_f32 v[vgprValuC+14], s[sgprAlpha], v[vgprValuC+14] // *= alpha ( Cr = Ar * Cr)
_v_mac_f32 v[vgprValuC+14], -s[sgprAlpha+1], v[vgprValuC+15] // *= alpha ( Cr += -Ai * Ci )
v_mul_f32 v[vgprValuC+15], s[sgprAlpha], v[vgprValuC+15] // *= alpha ( Ci = Ar * Ci)
_v_mac_f32 v[vgprValuC+15], s[sgprAlpha+1], v24    // *= alpha ( Ci += Ai * Cr_backup )
v_mov_b32 v24, v[vgprValuC+16]                     // store Cr
v_mul_f32 v[vgprValuC+16], s[sgprAlpha], v[vgprValuC+16] // *= alpha ( Cr = Ar * Cr)
_v_mac_f32 v[vgprValuC+16], -s[sgprAlpha+1], v[vgprValuC+17] // *= alpha ( Cr += -Ai * Ci )
v_mul_f32 v[vgprValuC+17], s[sgprAlpha], v[vgprValuC+17] // *= alpha ( Ci = Ar * Ci)
_v_mac_f32 v[vgprValuC+17], s[sgprAlpha+1], v24    // *= alpha ( Ci += Ai * Cr_backup )
v_mov_b32 v24, v[vgprValuC+18]                     // store Cr
v_mul_f32 v[vgprValuC+18], s[sgprAlpha], v[vgprValuC+18] // *= alpha ( Cr = Ar * Cr)
_v_mac_f32 v[vgprValuC+18], -s[sgprAlpha+1], v[vgprValuC+19] // *= alpha ( Cr += -Ai * Ci )
v_mul_f32 v[vgprValuC+19], s[sgprAlpha], v[vgprValuC+19] // *= alpha ( Ci = Ar * Ci)
_v_mac_f32 v[vgprValuC+19], s[sgprAlpha+1], v24    // *= alpha ( Ci += Ai * Cr_backup )
v_mov_b32 v24, v[vgprValuC+20]                     // store Cr
v_mul_f32 v[vgprValuC+20], s[sgprAlpha], v[vgprValuC+20] // *= alpha ( Cr = Ar * Cr)
_v_mac_f32 v[vgprValuC+20], -s[sgprAlpha+1], v[vgprValuC+21] // *= alpha ( Cr += -Ai * Ci )
v_mul_f32 v[vgprValuC+21], s[sgprAlpha], v[vgprValuC+21] // *= alpha ( Ci = Ar * Ci)
_v_mac_f32 v[vgprValuC+21], s[sgprAlpha+1], v24    // *= alpha ( Ci += Ai * Cr_backup )
v_mov_b32 v24, v[vgprValuC+22]                     // store Cr
v_mul_f32 v[vgprValuC+22], s[sgprAlpha], v[vgprValuC+22] // *= alpha ( Cr = Ar * Cr)
_v_mac_f32 v[vgprValuC+22], -s[sgprAlpha+1], v[vgprValuC+23] // *= alpha ( Cr += -Ai * Ci )
v_mul_f32 v[vgprValuC+23], s[sgprAlpha], v[vgprValuC+23] // *= alpha ( Ci = Ar * Ci)
_v_mac_f32 v[vgprValuC+23], s[sgprAlpha+1], v24    // *= alpha ( Ci += Ai * Cr_backup )

/* apply mask, calc new C and issue writes */
s_mul_i32 s56, s[sgprStrideD1J], 104               // scale StrideD *= numRows(13) * bpe
s_add_u32  s[sgprSrdD+0], s[sgprSrdD+0], s56       // incToNextRow: gra SRD += inc(lower)
s_addc_u32  s[sgprSrdD+1], s[sgprSrdD+1], 0        // incToNextRow: gra SRD += inc(upper)
_buffer_store_b128 v[8:11], v6, s[sgprSrdD:sgprSrdD+3], 0, offen, offset:0,  nt // store D
_buffer_store_b128 v[12:15], v6, s[sgprSrdD:sgprSrdD+3], 0, offen, offset:1024,  nt // store D
s_lshl_b32  s56, s[sgprStrideD1J], 3               // incToNextRow: Scale by BPE
s_add_u32  s[sgprSrdD+0], s[sgprSrdD+0], s56       // incToNextRow: gra SRD += inc(lower)
s_addc_u32  s[sgprSrdD+1], s[sgprSrdD+1], 0        // incToNextRow: gra SRD += inc(upper)
_buffer_store_b128 v[16:19], v6, s[sgprSrdD:sgprSrdD+3], 0, offen, offset:0,  nt // store D
_buffer_store_b128 v[20:23], v6, s[sgprSrdD:sgprSrdD+3], 0, offen, offset:1024,  nt // store D
s_nop 0                                            // 1 wait state required when next inst writes vgprs held by previous dwordx4 store inst
/* optSingleColVgpr=1 optSharedColVgpr=0 optSGPRUsage=BufferLoad_Mask optSrdIncForRow=1 */
s_sleep 3 // optimization: sync and wait
s_barrier

/******************************************/
/* Global Write Alpha Batch #5 (d1,d0,vc1,vc0) = */
/*    (2,0,2,0:vw2); (2,1,2,0:vw2); (2,0,3,0:vw2); (2,1,3,0:vw2) */
/******************************************/

/* calc coords, apply mask, and issue loads (if necessary) */
/* (d1,vc1,d0,vc0)=(2,2,0,0) */
/* (d1,vc1,d0,vc0)=(2,2,1,0) */
	;; [unrolled: 1-line block ×4, first 2 shown]
v_accvgpr_read_b32 v[vgprValuC+8], acc34 // copy acc to vreg[80]
v_accvgpr_read_b32 v[vgprValuC+9], acc146 // copy acc to vreg[81]
v_accvgpr_read_b32 v[vgprValuC+10], acc38 // copy acc to vreg[82]
v_accvgpr_read_b32 v[vgprValuC+11], acc150 // copy acc to vreg[83]
v_accvgpr_read_b32 v[vgprValuC+12], acc42 // copy acc to vreg[84]
v_accvgpr_read_b32 v[vgprValuC+13], acc154 // copy acc to vreg[85]
v_accvgpr_read_b32 v[vgprValuC+14], acc46 // copy acc to vreg[86]
v_accvgpr_read_b32 v[vgprValuC+15], acc158 // copy acc to vreg[87]
v_accvgpr_read_b32 v[vgprValuC+16], acc35 // copy acc to vreg[88]
v_accvgpr_read_b32 v[vgprValuC+17], acc147 // copy acc to vreg[89]
v_accvgpr_read_b32 v[vgprValuC+18], acc39 // copy acc to vreg[90]
v_accvgpr_read_b32 v[vgprValuC+19], acc151 // copy acc to vreg[91]
v_accvgpr_read_b32 v[vgprValuC+20], acc43 // copy acc to vreg[92]
v_accvgpr_read_b32 v[vgprValuC+21], acc155 // copy acc to vreg[93]
v_accvgpr_read_b32 v[vgprValuC+22], acc47 // copy acc to vreg[94]
v_accvgpr_read_b32 v[vgprValuC+23], acc159 // copy acc to vreg[95]
s_nop 1                                            // 2 wait states required before reading vgpr

/* rC *= alpha batchElements=[(2, 0, 2, 0), (2, 1, 2, 0), (2, 0, 3, 0), (2, 1, 3, 0)] */
v_mov_b32 v24, v[vgprValuC+8]                      // store Cr
v_mul_f32 v[vgprValuC+8], s[sgprAlpha], v[vgprValuC+8] // *= alpha ( Cr = Ar * Cr)
_v_mac_f32 v[vgprValuC+8], -s[sgprAlpha+1], v[vgprValuC+9] // *= alpha ( Cr += -Ai * Ci )
v_mul_f32 v[vgprValuC+9], s[sgprAlpha], v[vgprValuC+9] // *= alpha ( Ci = Ar * Ci)
_v_mac_f32 v[vgprValuC+9], s[sgprAlpha+1], v24     // *= alpha ( Ci += Ai * Cr_backup )
v_mov_b32 v24, v[vgprValuC+10]                     // store Cr
v_mul_f32 v[vgprValuC+10], s[sgprAlpha], v[vgprValuC+10] // *= alpha ( Cr = Ar * Cr)
_v_mac_f32 v[vgprValuC+10], -s[sgprAlpha+1], v[vgprValuC+11] // *= alpha ( Cr += -Ai * Ci )
v_mul_f32 v[vgprValuC+11], s[sgprAlpha], v[vgprValuC+11] // *= alpha ( Ci = Ar * Ci)
_v_mac_f32 v[vgprValuC+11], s[sgprAlpha+1], v24    // *= alpha ( Ci += Ai * Cr_backup )
v_mov_b32 v24, v[vgprValuC+12]                     // store Cr
v_mul_f32 v[vgprValuC+12], s[sgprAlpha], v[vgprValuC+12] // *= alpha ( Cr = Ar * Cr)
_v_mac_f32 v[vgprValuC+12], -s[sgprAlpha+1], v[vgprValuC+13] // *= alpha ( Cr += -Ai * Ci )
v_mul_f32 v[vgprValuC+13], s[sgprAlpha], v[vgprValuC+13] // *= alpha ( Ci = Ar * Ci)
_v_mac_f32 v[vgprValuC+13], s[sgprAlpha+1], v24    // *= alpha ( Ci += Ai * Cr_backup )
v_mov_b32 v24, v[vgprValuC+14]                     // store Cr
v_mul_f32 v[vgprValuC+14], s[sgprAlpha], v[vgprValuC+14] // *= alpha ( Cr = Ar * Cr)
_v_mac_f32 v[vgprValuC+14], -s[sgprAlpha+1], v[vgprValuC+15] // *= alpha ( Cr += -Ai * Ci )
v_mul_f32 v[vgprValuC+15], s[sgprAlpha], v[vgprValuC+15] // *= alpha ( Ci = Ar * Ci)
_v_mac_f32 v[vgprValuC+15], s[sgprAlpha+1], v24    // *= alpha ( Ci += Ai * Cr_backup )
v_mov_b32 v24, v[vgprValuC+16]                     // store Cr
v_mul_f32 v[vgprValuC+16], s[sgprAlpha], v[vgprValuC+16] // *= alpha ( Cr = Ar * Cr)
_v_mac_f32 v[vgprValuC+16], -s[sgprAlpha+1], v[vgprValuC+17] // *= alpha ( Cr += -Ai * Ci )
v_mul_f32 v[vgprValuC+17], s[sgprAlpha], v[vgprValuC+17] // *= alpha ( Ci = Ar * Ci)
_v_mac_f32 v[vgprValuC+17], s[sgprAlpha+1], v24    // *= alpha ( Ci += Ai * Cr_backup )
v_mov_b32 v24, v[vgprValuC+18]                     // store Cr
v_mul_f32 v[vgprValuC+18], s[sgprAlpha], v[vgprValuC+18] // *= alpha ( Cr = Ar * Cr)
_v_mac_f32 v[vgprValuC+18], -s[sgprAlpha+1], v[vgprValuC+19] // *= alpha ( Cr += -Ai * Ci )
v_mul_f32 v[vgprValuC+19], s[sgprAlpha], v[vgprValuC+19] // *= alpha ( Ci = Ar * Ci)
_v_mac_f32 v[vgprValuC+19], s[sgprAlpha+1], v24    // *= alpha ( Ci += Ai * Cr_backup )
v_mov_b32 v24, v[vgprValuC+20]                     // store Cr
v_mul_f32 v[vgprValuC+20], s[sgprAlpha], v[vgprValuC+20] // *= alpha ( Cr = Ar * Cr)
_v_mac_f32 v[vgprValuC+20], -s[sgprAlpha+1], v[vgprValuC+21] // *= alpha ( Cr += -Ai * Ci )
v_mul_f32 v[vgprValuC+21], s[sgprAlpha], v[vgprValuC+21] // *= alpha ( Ci = Ar * Ci)
_v_mac_f32 v[vgprValuC+21], s[sgprAlpha+1], v24    // *= alpha ( Ci += Ai * Cr_backup )
v_mov_b32 v24, v[vgprValuC+22]                     // store Cr
v_mul_f32 v[vgprValuC+22], s[sgprAlpha], v[vgprValuC+22] // *= alpha ( Cr = Ar * Cr)
_v_mac_f32 v[vgprValuC+22], -s[sgprAlpha+1], v[vgprValuC+23] // *= alpha ( Cr += -Ai * Ci )
v_mul_f32 v[vgprValuC+23], s[sgprAlpha], v[vgprValuC+23] // *= alpha ( Ci = Ar * Ci)
_v_mac_f32 v[vgprValuC+23], s[sgprAlpha+1], v24    // *= alpha ( Ci += Ai * Cr_backup )

/* apply mask, calc new C and issue writes */
s_lshl_b32  s56, s[sgprStrideD1J], 3               // incToNextRow: Scale by BPE
s_add_u32  s[sgprSrdD+0], s[sgprSrdD+0], s56       // incToNextRow: gra SRD += inc(lower)
s_addc_u32  s[sgprSrdD+1], s[sgprSrdD+1], 0        // incToNextRow: gra SRD += inc(upper)
_buffer_store_b128 v[8:11], v6, s[sgprSrdD:sgprSrdD+3], 0, offen, offset:0,  nt // store D
_buffer_store_b128 v[12:15], v6, s[sgprSrdD:sgprSrdD+3], 0, offen, offset:1024,  nt // store D
s_lshl_b32  s56, s[sgprStrideD1J], 3               // incToNextRow: Scale by BPE
s_add_u32  s[sgprSrdD+0], s[sgprSrdD+0], s56       // incToNextRow: gra SRD += inc(lower)
s_addc_u32  s[sgprSrdD+1], s[sgprSrdD+1], 0        // incToNextRow: gra SRD += inc(upper)
_buffer_store_b128 v[16:19], v6, s[sgprSrdD:sgprSrdD+3], 0, offen, offset:0,  nt // store D
_buffer_store_b128 v[20:23], v6, s[sgprSrdD:sgprSrdD+3], 0, offen, offset:1024,  nt // store D
s_nop 0                                            // 1 wait state required when next inst writes vgprs held by previous dwordx4 store inst
/* optSingleColVgpr=1 optSharedColVgpr=0 optSGPRUsage=BufferLoad_Mask optSrdIncForRow=1 */
s_sleep 3 // optimization: sync and wait
s_barrier

/******************************************/
/* Global Write Alpha Batch #6 (d1,d0,vc1,vc0) = */
/*    (3,0,0,0:vw2); (3,1,0,0:vw2); (3,0,1,0:vw2); (3,1,1,0:vw2) */
/******************************************/

/* calc coords, apply mask, and issue loads (if necessary) */
/* (d1,vc1,d0,vc0)=(3,0,0,0) */
/* (d1,vc1,d0,vc0)=(3,0,1,0) */
	;; [unrolled: 1-line block ×4, first 2 shown]
v_accvgpr_read_b32 v[vgprValuC+8], acc48 // copy acc to vreg[96]
v_accvgpr_read_b32 v[vgprValuC+9], acc160 // copy acc to vreg[97]
v_accvgpr_read_b32 v[vgprValuC+10], acc52 // copy acc to vreg[98]
v_accvgpr_read_b32 v[vgprValuC+11], acc164 // copy acc to vreg[99]
v_accvgpr_read_b32 v[vgprValuC+12], acc56 // copy acc to vreg[100]
v_accvgpr_read_b32 v[vgprValuC+13], acc168 // copy acc to vreg[101]
v_accvgpr_read_b32 v[vgprValuC+14], acc60 // copy acc to vreg[102]
v_accvgpr_read_b32 v[vgprValuC+15], acc172 // copy acc to vreg[103]
v_accvgpr_read_b32 v[vgprValuC+16], acc49 // copy acc to vreg[104]
v_accvgpr_read_b32 v[vgprValuC+17], acc161 // copy acc to vreg[105]
v_accvgpr_read_b32 v[vgprValuC+18], acc53 // copy acc to vreg[106]
v_accvgpr_read_b32 v[vgprValuC+19], acc165 // copy acc to vreg[107]
v_accvgpr_read_b32 v[vgprValuC+20], acc57 // copy acc to vreg[108]
v_accvgpr_read_b32 v[vgprValuC+21], acc169 // copy acc to vreg[109]
v_accvgpr_read_b32 v[vgprValuC+22], acc61 // copy acc to vreg[110]
v_accvgpr_read_b32 v[vgprValuC+23], acc173 // copy acc to vreg[111]
s_nop 1                                            // 2 wait states required before reading vgpr

/* rC *= alpha batchElements=[(3, 0, 0, 0), (3, 1, 0, 0), (3, 0, 1, 0), (3, 1, 1, 0)] */
v_mov_b32 v24, v[vgprValuC+8]                      // store Cr
v_mul_f32 v[vgprValuC+8], s[sgprAlpha], v[vgprValuC+8] // *= alpha ( Cr = Ar * Cr)
_v_mac_f32 v[vgprValuC+8], -s[sgprAlpha+1], v[vgprValuC+9] // *= alpha ( Cr += -Ai * Ci )
v_mul_f32 v[vgprValuC+9], s[sgprAlpha], v[vgprValuC+9] // *= alpha ( Ci = Ar * Ci)
_v_mac_f32 v[vgprValuC+9], s[sgprAlpha+1], v24     // *= alpha ( Ci += Ai * Cr_backup )
v_mov_b32 v24, v[vgprValuC+10]                     // store Cr
v_mul_f32 v[vgprValuC+10], s[sgprAlpha], v[vgprValuC+10] // *= alpha ( Cr = Ar * Cr)
_v_mac_f32 v[vgprValuC+10], -s[sgprAlpha+1], v[vgprValuC+11] // *= alpha ( Cr += -Ai * Ci )
v_mul_f32 v[vgprValuC+11], s[sgprAlpha], v[vgprValuC+11] // *= alpha ( Ci = Ar * Ci)
_v_mac_f32 v[vgprValuC+11], s[sgprAlpha+1], v24    // *= alpha ( Ci += Ai * Cr_backup )
v_mov_b32 v24, v[vgprValuC+12]                     // store Cr
v_mul_f32 v[vgprValuC+12], s[sgprAlpha], v[vgprValuC+12] // *= alpha ( Cr = Ar * Cr)
_v_mac_f32 v[vgprValuC+12], -s[sgprAlpha+1], v[vgprValuC+13] // *= alpha ( Cr += -Ai * Ci )
v_mul_f32 v[vgprValuC+13], s[sgprAlpha], v[vgprValuC+13] // *= alpha ( Ci = Ar * Ci)
_v_mac_f32 v[vgprValuC+13], s[sgprAlpha+1], v24    // *= alpha ( Ci += Ai * Cr_backup )
	;; [unrolled: 5-line block ×7, first 2 shown]

/* apply mask, calc new C and issue writes */
s_mul_i32 s56, s[sgprStrideD1J], 104               // scale StrideD *= numRows(13) * bpe
s_add_u32  s[sgprSrdD+0], s[sgprSrdD+0], s56       // incToNextRow: gra SRD += inc(lower)
s_addc_u32  s[sgprSrdD+1], s[sgprSrdD+1], 0        // incToNextRow: gra SRD += inc(upper)
_buffer_store_b128 v[8:11], v6, s[sgprSrdD:sgprSrdD+3], 0, offen, offset:0,  nt // store D
_buffer_store_b128 v[12:15], v6, s[sgprSrdD:sgprSrdD+3], 0, offen, offset:1024,  nt // store D
s_lshl_b32  s56, s[sgprStrideD1J], 3               // incToNextRow: Scale by BPE
s_add_u32  s[sgprSrdD+0], s[sgprSrdD+0], s56       // incToNextRow: gra SRD += inc(lower)
s_addc_u32  s[sgprSrdD+1], s[sgprSrdD+1], 0        // incToNextRow: gra SRD += inc(upper)
_buffer_store_b128 v[16:19], v6, s[sgprSrdD:sgprSrdD+3], 0, offen, offset:0,  nt // store D
_buffer_store_b128 v[20:23], v6, s[sgprSrdD:sgprSrdD+3], 0, offen, offset:1024,  nt // store D
s_nop 0                                            // 1 wait state required when next inst writes vgprs held by previous dwordx4 store inst
/* optSingleColVgpr=1 optSharedColVgpr=0 optSGPRUsage=BufferLoad_Mask optSrdIncForRow=1 */
s_sleep 3 // optimization: sync and wait
s_barrier

/******************************************/
/* Global Write Alpha Batch #7 (d1,d0,vc1,vc0) = */
/*    (3,0,2,0:vw2); (3,1,2,0:vw2); (3,0,3,0:vw2); (3,1,3,0:vw2) */
/******************************************/

/* calc coords, apply mask, and issue loads (if necessary) */
/* (d1,vc1,d0,vc0)=(3,2,0,0) */
/* (d1,vc1,d0,vc0)=(3,2,1,0) */
	;; [unrolled: 1-line block ×4, first 2 shown]
v_accvgpr_read_b32 v[vgprValuC+8], acc50 // copy acc to vreg[112]
v_accvgpr_read_b32 v[vgprValuC+9], acc162 // copy acc to vreg[113]
v_accvgpr_read_b32 v[vgprValuC+10], acc54 // copy acc to vreg[114]
v_accvgpr_read_b32 v[vgprValuC+11], acc166 // copy acc to vreg[115]
v_accvgpr_read_b32 v[vgprValuC+12], acc58 // copy acc to vreg[116]
v_accvgpr_read_b32 v[vgprValuC+13], acc170 // copy acc to vreg[117]
v_accvgpr_read_b32 v[vgprValuC+14], acc62 // copy acc to vreg[118]
v_accvgpr_read_b32 v[vgprValuC+15], acc174 // copy acc to vreg[119]
v_accvgpr_read_b32 v[vgprValuC+16], acc51 // copy acc to vreg[120]
v_accvgpr_read_b32 v[vgprValuC+17], acc163 // copy acc to vreg[121]
v_accvgpr_read_b32 v[vgprValuC+18], acc55 // copy acc to vreg[122]
v_accvgpr_read_b32 v[vgprValuC+19], acc167 // copy acc to vreg[123]
v_accvgpr_read_b32 v[vgprValuC+20], acc59 // copy acc to vreg[124]
v_accvgpr_read_b32 v[vgprValuC+21], acc171 // copy acc to vreg[125]
v_accvgpr_read_b32 v[vgprValuC+22], acc63 // copy acc to vreg[126]
v_accvgpr_read_b32 v[vgprValuC+23], acc175 // copy acc to vreg[127]
s_nop 1                                            // 2 wait states required before reading vgpr

/* rC *= alpha batchElements=[(3, 0, 2, 0), (3, 1, 2, 0), (3, 0, 3, 0), (3, 1, 3, 0)] */
v_mov_b32 v24, v[vgprValuC+8]                      // store Cr
v_mul_f32 v[vgprValuC+8], s[sgprAlpha], v[vgprValuC+8] // *= alpha ( Cr = Ar * Cr)
_v_mac_f32 v[vgprValuC+8], -s[sgprAlpha+1], v[vgprValuC+9] // *= alpha ( Cr += -Ai * Ci )
v_mul_f32 v[vgprValuC+9], s[sgprAlpha], v[vgprValuC+9] // *= alpha ( Ci = Ar * Ci)
_v_mac_f32 v[vgprValuC+9], s[sgprAlpha+1], v24     // *= alpha ( Ci += Ai * Cr_backup )
v_mov_b32 v24, v[vgprValuC+10]                     // store Cr
v_mul_f32 v[vgprValuC+10], s[sgprAlpha], v[vgprValuC+10] // *= alpha ( Cr = Ar * Cr)
_v_mac_f32 v[vgprValuC+10], -s[sgprAlpha+1], v[vgprValuC+11] // *= alpha ( Cr += -Ai * Ci )
v_mul_f32 v[vgprValuC+11], s[sgprAlpha], v[vgprValuC+11] // *= alpha ( Ci = Ar * Ci)
_v_mac_f32 v[vgprValuC+11], s[sgprAlpha+1], v24    // *= alpha ( Ci += Ai * Cr_backup )
v_mov_b32 v24, v[vgprValuC+12]                     // store Cr
v_mul_f32 v[vgprValuC+12], s[sgprAlpha], v[vgprValuC+12] // *= alpha ( Cr = Ar * Cr)
_v_mac_f32 v[vgprValuC+12], -s[sgprAlpha+1], v[vgprValuC+13] // *= alpha ( Cr += -Ai * Ci )
v_mul_f32 v[vgprValuC+13], s[sgprAlpha], v[vgprValuC+13] // *= alpha ( Ci = Ar * Ci)
_v_mac_f32 v[vgprValuC+13], s[sgprAlpha+1], v24    // *= alpha ( Ci += Ai * Cr_backup )
v_mov_b32 v24, v[vgprValuC+14]                     // store Cr
v_mul_f32 v[vgprValuC+14], s[sgprAlpha], v[vgprValuC+14] // *= alpha ( Cr = Ar * Cr)
_v_mac_f32 v[vgprValuC+14], -s[sgprAlpha+1], v[vgprValuC+15] // *= alpha ( Cr += -Ai * Ci )
v_mul_f32 v[vgprValuC+15], s[sgprAlpha], v[vgprValuC+15] // *= alpha ( Ci = Ar * Ci)
_v_mac_f32 v[vgprValuC+15], s[sgprAlpha+1], v24    // *= alpha ( Ci += Ai * Cr_backup )
v_mov_b32 v24, v[vgprValuC+16]                     // store Cr
v_mul_f32 v[vgprValuC+16], s[sgprAlpha], v[vgprValuC+16] // *= alpha ( Cr = Ar * Cr)
_v_mac_f32 v[vgprValuC+16], -s[sgprAlpha+1], v[vgprValuC+17] // *= alpha ( Cr += -Ai * Ci )
v_mul_f32 v[vgprValuC+17], s[sgprAlpha], v[vgprValuC+17] // *= alpha ( Ci = Ar * Ci)
_v_mac_f32 v[vgprValuC+17], s[sgprAlpha+1], v24    // *= alpha ( Ci += Ai * Cr_backup )
v_mov_b32 v24, v[vgprValuC+18]                     // store Cr
v_mul_f32 v[vgprValuC+18], s[sgprAlpha], v[vgprValuC+18] // *= alpha ( Cr = Ar * Cr)
_v_mac_f32 v[vgprValuC+18], -s[sgprAlpha+1], v[vgprValuC+19] // *= alpha ( Cr += -Ai * Ci )
v_mul_f32 v[vgprValuC+19], s[sgprAlpha], v[vgprValuC+19] // *= alpha ( Ci = Ar * Ci)
_v_mac_f32 v[vgprValuC+19], s[sgprAlpha+1], v24    // *= alpha ( Ci += Ai * Cr_backup )
v_mov_b32 v24, v[vgprValuC+20]                     // store Cr
v_mul_f32 v[vgprValuC+20], s[sgprAlpha], v[vgprValuC+20] // *= alpha ( Cr = Ar * Cr)
_v_mac_f32 v[vgprValuC+20], -s[sgprAlpha+1], v[vgprValuC+21] // *= alpha ( Cr += -Ai * Ci )
v_mul_f32 v[vgprValuC+21], s[sgprAlpha], v[vgprValuC+21] // *= alpha ( Ci = Ar * Ci)
_v_mac_f32 v[vgprValuC+21], s[sgprAlpha+1], v24    // *= alpha ( Ci += Ai * Cr_backup )
v_mov_b32 v24, v[vgprValuC+22]                     // store Cr
v_mul_f32 v[vgprValuC+22], s[sgprAlpha], v[vgprValuC+22] // *= alpha ( Cr = Ar * Cr)
_v_mac_f32 v[vgprValuC+22], -s[sgprAlpha+1], v[vgprValuC+23] // *= alpha ( Cr += -Ai * Ci )
v_mul_f32 v[vgprValuC+23], s[sgprAlpha], v[vgprValuC+23] // *= alpha ( Ci = Ar * Ci)
_v_mac_f32 v[vgprValuC+23], s[sgprAlpha+1], v24    // *= alpha ( Ci += Ai * Cr_backup )

/* apply mask, calc new C and issue writes */
s_lshl_b32  s56, s[sgprStrideD1J], 3               // incToNextRow: Scale by BPE
s_add_u32  s[sgprSrdD+0], s[sgprSrdD+0], s56       // incToNextRow: gra SRD += inc(lower)
s_addc_u32  s[sgprSrdD+1], s[sgprSrdD+1], 0        // incToNextRow: gra SRD += inc(upper)
_buffer_store_b128 v[8:11], v6, s[sgprSrdD:sgprSrdD+3], 0, offen, offset:0,  nt // store D
_buffer_store_b128 v[12:15], v6, s[sgprSrdD:sgprSrdD+3], 0, offen, offset:1024,  nt // store D
s_lshl_b32  s56, s[sgprStrideD1J], 3               // incToNextRow: Scale by BPE
s_add_u32  s[sgprSrdD+0], s[sgprSrdD+0], s56       // incToNextRow: gra SRD += inc(lower)
s_addc_u32  s[sgprSrdD+1], s[sgprSrdD+1], 0        // incToNextRow: gra SRD += inc(upper)
_buffer_store_b128 v[16:19], v6, s[sgprSrdD:sgprSrdD+3], 0, offen, offset:0,  nt // store D
_buffer_store_b128 v[20:23], v6, s[sgprSrdD:sgprSrdD+3], 0, offen, offset:1024,  nt // store D
s_nop 0                                            // 1 wait state required when next inst writes vgprs held by previous dwordx4 store inst
/* optSingleColVgpr=1 optSharedColVgpr=0 optSGPRUsage=BufferLoad_Mask optSrdIncForRow=1 */
s_sleep 3 // optimization: sync and wait
s_barrier

/******************************************/
/* Global Write Alpha Batch #8 (d1,d0,vc1,vc0) = */
/*    (4,0,0,0:vw2); (4,1,0,0:vw2); (4,0,1,0:vw2); (4,1,1,0:vw2) */
/******************************************/

/* calc coords, apply mask, and issue loads (if necessary) */
/* (d1,vc1,d0,vc0)=(4,0,0,0) */
/* (d1,vc1,d0,vc0)=(4,0,1,0) */
	;; [unrolled: 1-line block ×4, first 2 shown]
v_accvgpr_read_b32 v[vgprValuC+8], acc64 // copy acc to vreg[128]
v_accvgpr_read_b32 v[vgprValuC+9], acc176 // copy acc to vreg[129]
v_accvgpr_read_b32 v[vgprValuC+10], acc68 // copy acc to vreg[130]
v_accvgpr_read_b32 v[vgprValuC+11], acc180 // copy acc to vreg[131]
v_accvgpr_read_b32 v[vgprValuC+12], acc72 // copy acc to vreg[132]
v_accvgpr_read_b32 v[vgprValuC+13], acc184 // copy acc to vreg[133]
v_accvgpr_read_b32 v[vgprValuC+14], acc76 // copy acc to vreg[134]
v_accvgpr_read_b32 v[vgprValuC+15], acc188 // copy acc to vreg[135]
v_accvgpr_read_b32 v[vgprValuC+16], acc65 // copy acc to vreg[136]
v_accvgpr_read_b32 v[vgprValuC+17], acc177 // copy acc to vreg[137]
v_accvgpr_read_b32 v[vgprValuC+18], acc69 // copy acc to vreg[138]
v_accvgpr_read_b32 v[vgprValuC+19], acc181 // copy acc to vreg[139]
v_accvgpr_read_b32 v[vgprValuC+20], acc73 // copy acc to vreg[140]
v_accvgpr_read_b32 v[vgprValuC+21], acc185 // copy acc to vreg[141]
v_accvgpr_read_b32 v[vgprValuC+22], acc77 // copy acc to vreg[142]
v_accvgpr_read_b32 v[vgprValuC+23], acc189 // copy acc to vreg[143]
s_nop 1                                            // 2 wait states required before reading vgpr

/* rC *= alpha batchElements=[(4, 0, 0, 0), (4, 1, 0, 0), (4, 0, 1, 0), (4, 1, 1, 0)] */
v_mov_b32 v24, v[vgprValuC+8]                      // store Cr
v_mul_f32 v[vgprValuC+8], s[sgprAlpha], v[vgprValuC+8] // *= alpha ( Cr = Ar * Cr)
_v_mac_f32 v[vgprValuC+8], -s[sgprAlpha+1], v[vgprValuC+9] // *= alpha ( Cr += -Ai * Ci )
v_mul_f32 v[vgprValuC+9], s[sgprAlpha], v[vgprValuC+9] // *= alpha ( Ci = Ar * Ci)
_v_mac_f32 v[vgprValuC+9], s[sgprAlpha+1], v24     // *= alpha ( Ci += Ai * Cr_backup )
v_mov_b32 v24, v[vgprValuC+10]                     // store Cr
v_mul_f32 v[vgprValuC+10], s[sgprAlpha], v[vgprValuC+10] // *= alpha ( Cr = Ar * Cr)
_v_mac_f32 v[vgprValuC+10], -s[sgprAlpha+1], v[vgprValuC+11] // *= alpha ( Cr += -Ai * Ci )
v_mul_f32 v[vgprValuC+11], s[sgprAlpha], v[vgprValuC+11] // *= alpha ( Ci = Ar * Ci)
_v_mac_f32 v[vgprValuC+11], s[sgprAlpha+1], v24    // *= alpha ( Ci += Ai * Cr_backup )
v_mov_b32 v24, v[vgprValuC+12]                     // store Cr
v_mul_f32 v[vgprValuC+12], s[sgprAlpha], v[vgprValuC+12] // *= alpha ( Cr = Ar * Cr)
_v_mac_f32 v[vgprValuC+12], -s[sgprAlpha+1], v[vgprValuC+13] // *= alpha ( Cr += -Ai * Ci )
v_mul_f32 v[vgprValuC+13], s[sgprAlpha], v[vgprValuC+13] // *= alpha ( Ci = Ar * Ci)
_v_mac_f32 v[vgprValuC+13], s[sgprAlpha+1], v24    // *= alpha ( Ci += Ai * Cr_backup )
	;; [unrolled: 5-line block ×7, first 2 shown]

/* apply mask, calc new C and issue writes */
s_mul_i32 s56, s[sgprStrideD1J], 104               // scale StrideD *= numRows(13) * bpe
s_add_u32  s[sgprSrdD+0], s[sgprSrdD+0], s56       // incToNextRow: gra SRD += inc(lower)
s_addc_u32  s[sgprSrdD+1], s[sgprSrdD+1], 0        // incToNextRow: gra SRD += inc(upper)
_buffer_store_b128 v[8:11], v6, s[sgprSrdD:sgprSrdD+3], 0, offen, offset:0,  nt // store D
_buffer_store_b128 v[12:15], v6, s[sgprSrdD:sgprSrdD+3], 0, offen, offset:1024,  nt // store D
s_lshl_b32  s56, s[sgprStrideD1J], 3               // incToNextRow: Scale by BPE
s_add_u32  s[sgprSrdD+0], s[sgprSrdD+0], s56       // incToNextRow: gra SRD += inc(lower)
s_addc_u32  s[sgprSrdD+1], s[sgprSrdD+1], 0        // incToNextRow: gra SRD += inc(upper)
_buffer_store_b128 v[16:19], v6, s[sgprSrdD:sgprSrdD+3], 0, offen, offset:0,  nt // store D
_buffer_store_b128 v[20:23], v6, s[sgprSrdD:sgprSrdD+3], 0, offen, offset:1024,  nt // store D
s_nop 0                                            // 1 wait state required when next inst writes vgprs held by previous dwordx4 store inst
/* optSingleColVgpr=1 optSharedColVgpr=0 optSGPRUsage=BufferLoad_Mask optSrdIncForRow=1 */
s_sleep 3 // optimization: sync and wait
s_barrier

/******************************************/
/* Global Write Alpha Batch #9 (d1,d0,vc1,vc0) = */
/*    (4,0,2,0:vw2); (4,1,2,0:vw2); (4,0,3,0:vw2); (4,1,3,0:vw2) */
/******************************************/

/* calc coords, apply mask, and issue loads (if necessary) */
/* (d1,vc1,d0,vc0)=(4,2,0,0) */
/* (d1,vc1,d0,vc0)=(4,2,1,0) */
	;; [unrolled: 1-line block ×4, first 2 shown]
v_accvgpr_read_b32 v[vgprValuC+8], acc66 // copy acc to vreg[144]
v_accvgpr_read_b32 v[vgprValuC+9], acc178 // copy acc to vreg[145]
v_accvgpr_read_b32 v[vgprValuC+10], acc70 // copy acc to vreg[146]
v_accvgpr_read_b32 v[vgprValuC+11], acc182 // copy acc to vreg[147]
v_accvgpr_read_b32 v[vgprValuC+12], acc74 // copy acc to vreg[148]
v_accvgpr_read_b32 v[vgprValuC+13], acc186 // copy acc to vreg[149]
v_accvgpr_read_b32 v[vgprValuC+14], acc78 // copy acc to vreg[150]
v_accvgpr_read_b32 v[vgprValuC+15], acc190 // copy acc to vreg[151]
v_accvgpr_read_b32 v[vgprValuC+16], acc67 // copy acc to vreg[152]
v_accvgpr_read_b32 v[vgprValuC+17], acc179 // copy acc to vreg[153]
v_accvgpr_read_b32 v[vgprValuC+18], acc71 // copy acc to vreg[154]
v_accvgpr_read_b32 v[vgprValuC+19], acc183 // copy acc to vreg[155]
v_accvgpr_read_b32 v[vgprValuC+20], acc75 // copy acc to vreg[156]
v_accvgpr_read_b32 v[vgprValuC+21], acc187 // copy acc to vreg[157]
v_accvgpr_read_b32 v[vgprValuC+22], acc79 // copy acc to vreg[158]
v_accvgpr_read_b32 v[vgprValuC+23], acc191 // copy acc to vreg[159]
s_nop 1                                            // 2 wait states required before reading vgpr

/* rC *= alpha batchElements=[(4, 0, 2, 0), (4, 1, 2, 0), (4, 0, 3, 0), (4, 1, 3, 0)] */
v_mov_b32 v24, v[vgprValuC+8]                      // store Cr
v_mul_f32 v[vgprValuC+8], s[sgprAlpha], v[vgprValuC+8] // *= alpha ( Cr = Ar * Cr)
_v_mac_f32 v[vgprValuC+8], -s[sgprAlpha+1], v[vgprValuC+9] // *= alpha ( Cr += -Ai * Ci )
v_mul_f32 v[vgprValuC+9], s[sgprAlpha], v[vgprValuC+9] // *= alpha ( Ci = Ar * Ci)
_v_mac_f32 v[vgprValuC+9], s[sgprAlpha+1], v24     // *= alpha ( Ci += Ai * Cr_backup )
v_mov_b32 v24, v[vgprValuC+10]                     // store Cr
v_mul_f32 v[vgprValuC+10], s[sgprAlpha], v[vgprValuC+10] // *= alpha ( Cr = Ar * Cr)
_v_mac_f32 v[vgprValuC+10], -s[sgprAlpha+1], v[vgprValuC+11] // *= alpha ( Cr += -Ai * Ci )
v_mul_f32 v[vgprValuC+11], s[sgprAlpha], v[vgprValuC+11] // *= alpha ( Ci = Ar * Ci)
_v_mac_f32 v[vgprValuC+11], s[sgprAlpha+1], v24    // *= alpha ( Ci += Ai * Cr_backup )
v_mov_b32 v24, v[vgprValuC+12]                     // store Cr
v_mul_f32 v[vgprValuC+12], s[sgprAlpha], v[vgprValuC+12] // *= alpha ( Cr = Ar * Cr)
_v_mac_f32 v[vgprValuC+12], -s[sgprAlpha+1], v[vgprValuC+13] // *= alpha ( Cr += -Ai * Ci )
v_mul_f32 v[vgprValuC+13], s[sgprAlpha], v[vgprValuC+13] // *= alpha ( Ci = Ar * Ci)
_v_mac_f32 v[vgprValuC+13], s[sgprAlpha+1], v24    // *= alpha ( Ci += Ai * Cr_backup )
v_mov_b32 v24, v[vgprValuC+14]                     // store Cr
v_mul_f32 v[vgprValuC+14], s[sgprAlpha], v[vgprValuC+14] // *= alpha ( Cr = Ar * Cr)
_v_mac_f32 v[vgprValuC+14], -s[sgprAlpha+1], v[vgprValuC+15] // *= alpha ( Cr += -Ai * Ci )
v_mul_f32 v[vgprValuC+15], s[sgprAlpha], v[vgprValuC+15] // *= alpha ( Ci = Ar * Ci)
_v_mac_f32 v[vgprValuC+15], s[sgprAlpha+1], v24    // *= alpha ( Ci += Ai * Cr_backup )
v_mov_b32 v24, v[vgprValuC+16]                     // store Cr
v_mul_f32 v[vgprValuC+16], s[sgprAlpha], v[vgprValuC+16] // *= alpha ( Cr = Ar * Cr)
_v_mac_f32 v[vgprValuC+16], -s[sgprAlpha+1], v[vgprValuC+17] // *= alpha ( Cr += -Ai * Ci )
v_mul_f32 v[vgprValuC+17], s[sgprAlpha], v[vgprValuC+17] // *= alpha ( Ci = Ar * Ci)
_v_mac_f32 v[vgprValuC+17], s[sgprAlpha+1], v24    // *= alpha ( Ci += Ai * Cr_backup )
v_mov_b32 v24, v[vgprValuC+18]                     // store Cr
v_mul_f32 v[vgprValuC+18], s[sgprAlpha], v[vgprValuC+18] // *= alpha ( Cr = Ar * Cr)
_v_mac_f32 v[vgprValuC+18], -s[sgprAlpha+1], v[vgprValuC+19] // *= alpha ( Cr += -Ai * Ci )
v_mul_f32 v[vgprValuC+19], s[sgprAlpha], v[vgprValuC+19] // *= alpha ( Ci = Ar * Ci)
_v_mac_f32 v[vgprValuC+19], s[sgprAlpha+1], v24    // *= alpha ( Ci += Ai * Cr_backup )
v_mov_b32 v24, v[vgprValuC+20]                     // store Cr
v_mul_f32 v[vgprValuC+20], s[sgprAlpha], v[vgprValuC+20] // *= alpha ( Cr = Ar * Cr)
_v_mac_f32 v[vgprValuC+20], -s[sgprAlpha+1], v[vgprValuC+21] // *= alpha ( Cr += -Ai * Ci )
v_mul_f32 v[vgprValuC+21], s[sgprAlpha], v[vgprValuC+21] // *= alpha ( Ci = Ar * Ci)
_v_mac_f32 v[vgprValuC+21], s[sgprAlpha+1], v24    // *= alpha ( Ci += Ai * Cr_backup )
v_mov_b32 v24, v[vgprValuC+22]                     // store Cr
v_mul_f32 v[vgprValuC+22], s[sgprAlpha], v[vgprValuC+22] // *= alpha ( Cr = Ar * Cr)
_v_mac_f32 v[vgprValuC+22], -s[sgprAlpha+1], v[vgprValuC+23] // *= alpha ( Cr += -Ai * Ci )
v_mul_f32 v[vgprValuC+23], s[sgprAlpha], v[vgprValuC+23] // *= alpha ( Ci = Ar * Ci)
_v_mac_f32 v[vgprValuC+23], s[sgprAlpha+1], v24    // *= alpha ( Ci += Ai * Cr_backup )

/* apply mask, calc new C and issue writes */
s_lshl_b32  s56, s[sgprStrideD1J], 3               // incToNextRow: Scale by BPE
s_add_u32  s[sgprSrdD+0], s[sgprSrdD+0], s56       // incToNextRow: gra SRD += inc(lower)
s_addc_u32  s[sgprSrdD+1], s[sgprSrdD+1], 0        // incToNextRow: gra SRD += inc(upper)
_buffer_store_b128 v[8:11], v6, s[sgprSrdD:sgprSrdD+3], 0, offen, offset:0,  nt // store D
_buffer_store_b128 v[12:15], v6, s[sgprSrdD:sgprSrdD+3], 0, offen, offset:1024,  nt // store D
s_lshl_b32  s56, s[sgprStrideD1J], 3               // incToNextRow: Scale by BPE
s_add_u32  s[sgprSrdD+0], s[sgprSrdD+0], s56       // incToNextRow: gra SRD += inc(lower)
s_addc_u32  s[sgprSrdD+1], s[sgprSrdD+1], 0        // incToNextRow: gra SRD += inc(upper)
_buffer_store_b128 v[16:19], v6, s[sgprSrdD:sgprSrdD+3], 0, offen, offset:0,  nt // store D
_buffer_store_b128 v[20:23], v6, s[sgprSrdD:sgprSrdD+3], 0, offen, offset:1024,  nt // store D
s_nop 0                                            // 1 wait state required when next inst writes vgprs held by previous dwordx4 store inst
/* optSingleColVgpr=1 optSharedColVgpr=0 optSGPRUsage=BufferLoad_Mask optSrdIncForRow=1 */
s_sleep 3 // optimization: sync and wait
s_barrier

/******************************************/
/* Global Write Alpha Batch #10 (d1,d0,vc1,vc0) = */
/*    (5,0,0,0:vw2); (5,1,0,0:vw2); (5,0,1,0:vw2); (5,1,1,0:vw2) */
/******************************************/

/* calc coords, apply mask, and issue loads (if necessary) */
/* (d1,vc1,d0,vc0)=(5,0,0,0) */
/* (d1,vc1,d0,vc0)=(5,0,1,0) */
	;; [unrolled: 1-line block ×4, first 2 shown]
v_accvgpr_read_b32 v[vgprValuC+8], acc80 // copy acc to vreg[160]
v_accvgpr_read_b32 v[vgprValuC+9], acc192 // copy acc to vreg[161]
v_accvgpr_read_b32 v[vgprValuC+10], acc84 // copy acc to vreg[162]
v_accvgpr_read_b32 v[vgprValuC+11], acc196 // copy acc to vreg[163]
v_accvgpr_read_b32 v[vgprValuC+12], acc88 // copy acc to vreg[164]
v_accvgpr_read_b32 v[vgprValuC+13], acc200 // copy acc to vreg[165]
v_accvgpr_read_b32 v[vgprValuC+14], acc92 // copy acc to vreg[166]
v_accvgpr_read_b32 v[vgprValuC+15], acc204 // copy acc to vreg[167]
v_accvgpr_read_b32 v[vgprValuC+16], acc81 // copy acc to vreg[168]
v_accvgpr_read_b32 v[vgprValuC+17], acc193 // copy acc to vreg[169]
v_accvgpr_read_b32 v[vgprValuC+18], acc85 // copy acc to vreg[170]
v_accvgpr_read_b32 v[vgprValuC+19], acc197 // copy acc to vreg[171]
v_accvgpr_read_b32 v[vgprValuC+20], acc89 // copy acc to vreg[172]
v_accvgpr_read_b32 v[vgprValuC+21], acc201 // copy acc to vreg[173]
v_accvgpr_read_b32 v[vgprValuC+22], acc93 // copy acc to vreg[174]
v_accvgpr_read_b32 v[vgprValuC+23], acc205 // copy acc to vreg[175]
s_nop 1                                            // 2 wait states required before reading vgpr

/* rC *= alpha batchElements=[(5, 0, 0, 0), (5, 1, 0, 0), (5, 0, 1, 0), (5, 1, 1, 0)] */
v_mov_b32 v24, v[vgprValuC+8]                      // store Cr
v_mul_f32 v[vgprValuC+8], s[sgprAlpha], v[vgprValuC+8] // *= alpha ( Cr = Ar * Cr)
_v_mac_f32 v[vgprValuC+8], -s[sgprAlpha+1], v[vgprValuC+9] // *= alpha ( Cr += -Ai * Ci )
v_mul_f32 v[vgprValuC+9], s[sgprAlpha], v[vgprValuC+9] // *= alpha ( Ci = Ar * Ci)
_v_mac_f32 v[vgprValuC+9], s[sgprAlpha+1], v24     // *= alpha ( Ci += Ai * Cr_backup )
v_mov_b32 v24, v[vgprValuC+10]                     // store Cr
v_mul_f32 v[vgprValuC+10], s[sgprAlpha], v[vgprValuC+10] // *= alpha ( Cr = Ar * Cr)
_v_mac_f32 v[vgprValuC+10], -s[sgprAlpha+1], v[vgprValuC+11] // *= alpha ( Cr += -Ai * Ci )
v_mul_f32 v[vgprValuC+11], s[sgprAlpha], v[vgprValuC+11] // *= alpha ( Ci = Ar * Ci)
_v_mac_f32 v[vgprValuC+11], s[sgprAlpha+1], v24    // *= alpha ( Ci += Ai * Cr_backup )
v_mov_b32 v24, v[vgprValuC+12]                     // store Cr
v_mul_f32 v[vgprValuC+12], s[sgprAlpha], v[vgprValuC+12] // *= alpha ( Cr = Ar * Cr)
_v_mac_f32 v[vgprValuC+12], -s[sgprAlpha+1], v[vgprValuC+13] // *= alpha ( Cr += -Ai * Ci )
v_mul_f32 v[vgprValuC+13], s[sgprAlpha], v[vgprValuC+13] // *= alpha ( Ci = Ar * Ci)
_v_mac_f32 v[vgprValuC+13], s[sgprAlpha+1], v24    // *= alpha ( Ci += Ai * Cr_backup )
v_mov_b32 v24, v[vgprValuC+14]                     // store Cr
v_mul_f32 v[vgprValuC+14], s[sgprAlpha], v[vgprValuC+14] // *= alpha ( Cr = Ar * Cr)
_v_mac_f32 v[vgprValuC+14], -s[sgprAlpha+1], v[vgprValuC+15] // *= alpha ( Cr += -Ai * Ci )
v_mul_f32 v[vgprValuC+15], s[sgprAlpha], v[vgprValuC+15] // *= alpha ( Ci = Ar * Ci)
_v_mac_f32 v[vgprValuC+15], s[sgprAlpha+1], v24    // *= alpha ( Ci += Ai * Cr_backup )
v_mov_b32 v24, v[vgprValuC+16]                     // store Cr
v_mul_f32 v[vgprValuC+16], s[sgprAlpha], v[vgprValuC+16] // *= alpha ( Cr = Ar * Cr)
_v_mac_f32 v[vgprValuC+16], -s[sgprAlpha+1], v[vgprValuC+17] // *= alpha ( Cr += -Ai * Ci )
v_mul_f32 v[vgprValuC+17], s[sgprAlpha], v[vgprValuC+17] // *= alpha ( Ci = Ar * Ci)
_v_mac_f32 v[vgprValuC+17], s[sgprAlpha+1], v24    // *= alpha ( Ci += Ai * Cr_backup )
v_mov_b32 v24, v[vgprValuC+18]                     // store Cr
v_mul_f32 v[vgprValuC+18], s[sgprAlpha], v[vgprValuC+18] // *= alpha ( Cr = Ar * Cr)
_v_mac_f32 v[vgprValuC+18], -s[sgprAlpha+1], v[vgprValuC+19] // *= alpha ( Cr += -Ai * Ci )
v_mul_f32 v[vgprValuC+19], s[sgprAlpha], v[vgprValuC+19] // *= alpha ( Ci = Ar * Ci)
_v_mac_f32 v[vgprValuC+19], s[sgprAlpha+1], v24    // *= alpha ( Ci += Ai * Cr_backup )
v_mov_b32 v24, v[vgprValuC+20]                     // store Cr
v_mul_f32 v[vgprValuC+20], s[sgprAlpha], v[vgprValuC+20] // *= alpha ( Cr = Ar * Cr)
_v_mac_f32 v[vgprValuC+20], -s[sgprAlpha+1], v[vgprValuC+21] // *= alpha ( Cr += -Ai * Ci )
v_mul_f32 v[vgprValuC+21], s[sgprAlpha], v[vgprValuC+21] // *= alpha ( Ci = Ar * Ci)
_v_mac_f32 v[vgprValuC+21], s[sgprAlpha+1], v24    // *= alpha ( Ci += Ai * Cr_backup )
v_mov_b32 v24, v[vgprValuC+22]                     // store Cr
v_mul_f32 v[vgprValuC+22], s[sgprAlpha], v[vgprValuC+22] // *= alpha ( Cr = Ar * Cr)
_v_mac_f32 v[vgprValuC+22], -s[sgprAlpha+1], v[vgprValuC+23] // *= alpha ( Cr += -Ai * Ci )
v_mul_f32 v[vgprValuC+23], s[sgprAlpha], v[vgprValuC+23] // *= alpha ( Ci = Ar * Ci)
_v_mac_f32 v[vgprValuC+23], s[sgprAlpha+1], v24    // *= alpha ( Ci += Ai * Cr_backup )

/* apply mask, calc new C and issue writes */
s_mul_i32 s56, s[sgprStrideD1J], 104               // scale StrideD *= numRows(13) * bpe
s_add_u32  s[sgprSrdD+0], s[sgprSrdD+0], s56       // incToNextRow: gra SRD += inc(lower)
s_addc_u32  s[sgprSrdD+1], s[sgprSrdD+1], 0        // incToNextRow: gra SRD += inc(upper)
_buffer_store_b128 v[8:11], v6, s[sgprSrdD:sgprSrdD+3], 0, offen, offset:0,  nt // store D
_buffer_store_b128 v[12:15], v6, s[sgprSrdD:sgprSrdD+3], 0, offen, offset:1024,  nt // store D
s_lshl_b32  s56, s[sgprStrideD1J], 3               // incToNextRow: Scale by BPE
s_add_u32  s[sgprSrdD+0], s[sgprSrdD+0], s56       // incToNextRow: gra SRD += inc(lower)
s_addc_u32  s[sgprSrdD+1], s[sgprSrdD+1], 0        // incToNextRow: gra SRD += inc(upper)
_buffer_store_b128 v[16:19], v6, s[sgprSrdD:sgprSrdD+3], 0, offen, offset:0,  nt // store D
_buffer_store_b128 v[20:23], v6, s[sgprSrdD:sgprSrdD+3], 0, offen, offset:1024,  nt // store D
s_nop 0                                            // 1 wait state required when next inst writes vgprs held by previous dwordx4 store inst
/* optSingleColVgpr=1 optSharedColVgpr=0 optSGPRUsage=BufferLoad_Mask optSrdIncForRow=1 */
s_sleep 3 // optimization: sync and wait
s_barrier

/******************************************/
/* Global Write Alpha Batch #11 (d1,d0,vc1,vc0) = */
/*    (5,0,2,0:vw2); (5,1,2,0:vw2); (5,0,3,0:vw2); (5,1,3,0:vw2) */
/******************************************/

/* calc coords, apply mask, and issue loads (if necessary) */
/* (d1,vc1,d0,vc0)=(5,2,0,0) */
/* (d1,vc1,d0,vc0)=(5,2,1,0) */
	;; [unrolled: 1-line block ×4, first 2 shown]
v_accvgpr_read_b32 v[vgprValuC+8], acc82 // copy acc to vreg[176]
v_accvgpr_read_b32 v[vgprValuC+9], acc194 // copy acc to vreg[177]
v_accvgpr_read_b32 v[vgprValuC+10], acc86 // copy acc to vreg[178]
v_accvgpr_read_b32 v[vgprValuC+11], acc198 // copy acc to vreg[179]
v_accvgpr_read_b32 v[vgprValuC+12], acc90 // copy acc to vreg[180]
v_accvgpr_read_b32 v[vgprValuC+13], acc202 // copy acc to vreg[181]
v_accvgpr_read_b32 v[vgprValuC+14], acc94 // copy acc to vreg[182]
v_accvgpr_read_b32 v[vgprValuC+15], acc206 // copy acc to vreg[183]
v_accvgpr_read_b32 v[vgprValuC+16], acc83 // copy acc to vreg[184]
v_accvgpr_read_b32 v[vgprValuC+17], acc195 // copy acc to vreg[185]
v_accvgpr_read_b32 v[vgprValuC+18], acc87 // copy acc to vreg[186]
v_accvgpr_read_b32 v[vgprValuC+19], acc199 // copy acc to vreg[187]
v_accvgpr_read_b32 v[vgprValuC+20], acc91 // copy acc to vreg[188]
v_accvgpr_read_b32 v[vgprValuC+21], acc203 // copy acc to vreg[189]
v_accvgpr_read_b32 v[vgprValuC+22], acc95 // copy acc to vreg[190]
v_accvgpr_read_b32 v[vgprValuC+23], acc207 // copy acc to vreg[191]
s_nop 1                                            // 2 wait states required before reading vgpr

/* rC *= alpha batchElements=[(5, 0, 2, 0), (5, 1, 2, 0), (5, 0, 3, 0), (5, 1, 3, 0)] */
v_mov_b32 v24, v[vgprValuC+8]                      // store Cr
v_mul_f32 v[vgprValuC+8], s[sgprAlpha], v[vgprValuC+8] // *= alpha ( Cr = Ar * Cr)
_v_mac_f32 v[vgprValuC+8], -s[sgprAlpha+1], v[vgprValuC+9] // *= alpha ( Cr += -Ai * Ci )
v_mul_f32 v[vgprValuC+9], s[sgprAlpha], v[vgprValuC+9] // *= alpha ( Ci = Ar * Ci)
_v_mac_f32 v[vgprValuC+9], s[sgprAlpha+1], v24     // *= alpha ( Ci += Ai * Cr_backup )
v_mov_b32 v24, v[vgprValuC+10]                     // store Cr
v_mul_f32 v[vgprValuC+10], s[sgprAlpha], v[vgprValuC+10] // *= alpha ( Cr = Ar * Cr)
_v_mac_f32 v[vgprValuC+10], -s[sgprAlpha+1], v[vgprValuC+11] // *= alpha ( Cr += -Ai * Ci )
v_mul_f32 v[vgprValuC+11], s[sgprAlpha], v[vgprValuC+11] // *= alpha ( Ci = Ar * Ci)
_v_mac_f32 v[vgprValuC+11], s[sgprAlpha+1], v24    // *= alpha ( Ci += Ai * Cr_backup )
v_mov_b32 v24, v[vgprValuC+12]                     // store Cr
v_mul_f32 v[vgprValuC+12], s[sgprAlpha], v[vgprValuC+12] // *= alpha ( Cr = Ar * Cr)
_v_mac_f32 v[vgprValuC+12], -s[sgprAlpha+1], v[vgprValuC+13] // *= alpha ( Cr += -Ai * Ci )
v_mul_f32 v[vgprValuC+13], s[sgprAlpha], v[vgprValuC+13] // *= alpha ( Ci = Ar * Ci)
_v_mac_f32 v[vgprValuC+13], s[sgprAlpha+1], v24    // *= alpha ( Ci += Ai * Cr_backup )
	;; [unrolled: 5-line block ×7, first 2 shown]

/* apply mask, calc new C and issue writes */
s_lshl_b32  s56, s[sgprStrideD1J], 3               // incToNextRow: Scale by BPE
s_add_u32  s[sgprSrdD+0], s[sgprSrdD+0], s56       // incToNextRow: gra SRD += inc(lower)
s_addc_u32  s[sgprSrdD+1], s[sgprSrdD+1], 0        // incToNextRow: gra SRD += inc(upper)
_buffer_store_b128 v[8:11], v6, s[sgprSrdD:sgprSrdD+3], 0, offen, offset:0,  nt // store D
_buffer_store_b128 v[12:15], v6, s[sgprSrdD:sgprSrdD+3], 0, offen, offset:1024,  nt // store D
s_lshl_b32  s56, s[sgprStrideD1J], 3               // incToNextRow: Scale by BPE
s_add_u32  s[sgprSrdD+0], s[sgprSrdD+0], s56       // incToNextRow: gra SRD += inc(lower)
s_addc_u32  s[sgprSrdD+1], s[sgprSrdD+1], 0        // incToNextRow: gra SRD += inc(upper)
_buffer_store_b128 v[16:19], v6, s[sgprSrdD:sgprSrdD+3], 0, offen, offset:0,  nt // store D
_buffer_store_b128 v[20:23], v6, s[sgprSrdD:sgprSrdD+3], 0, offen, offset:1024,  nt // store D
s_nop 0                                            // 1 wait state required when next inst writes vgprs held by previous dwordx4 store inst
/* optSingleColVgpr=1 optSharedColVgpr=0 optSGPRUsage=BufferLoad_Mask optSrdIncForRow=1 */
s_sleep 3 // optimization: sync and wait
s_barrier

/******************************************/
/* Global Write Alpha Batch #12 (d1,d0,vc1,vc0) = */
/*    (6,0,0,0:vw2); (6,1,0,0:vw2); (6,0,1,0:vw2); (6,1,1,0:vw2) */
/******************************************/

/* calc coords, apply mask, and issue loads (if necessary) */
/* (d1,vc1,d0,vc0)=(6,0,0,0) */
/* (d1,vc1,d0,vc0)=(6,0,1,0) */
	;; [unrolled: 1-line block ×4, first 2 shown]
v_accvgpr_read_b32 v[vgprValuC+8], acc96 // copy acc to vreg[192]
v_accvgpr_read_b32 v[vgprValuC+9], acc208 // copy acc to vreg[193]
v_accvgpr_read_b32 v[vgprValuC+10], acc100 // copy acc to vreg[194]
v_accvgpr_read_b32 v[vgprValuC+11], acc212 // copy acc to vreg[195]
v_accvgpr_read_b32 v[vgprValuC+12], acc104 // copy acc to vreg[196]
v_accvgpr_read_b32 v[vgprValuC+13], acc216 // copy acc to vreg[197]
v_accvgpr_read_b32 v[vgprValuC+14], acc108 // copy acc to vreg[198]
v_accvgpr_read_b32 v[vgprValuC+15], acc220 // copy acc to vreg[199]
v_accvgpr_read_b32 v[vgprValuC+16], acc97 // copy acc to vreg[200]
v_accvgpr_read_b32 v[vgprValuC+17], acc209 // copy acc to vreg[201]
v_accvgpr_read_b32 v[vgprValuC+18], acc101 // copy acc to vreg[202]
v_accvgpr_read_b32 v[vgprValuC+19], acc213 // copy acc to vreg[203]
v_accvgpr_read_b32 v[vgprValuC+20], acc105 // copy acc to vreg[204]
v_accvgpr_read_b32 v[vgprValuC+21], acc217 // copy acc to vreg[205]
v_accvgpr_read_b32 v[vgprValuC+22], acc109 // copy acc to vreg[206]
v_accvgpr_read_b32 v[vgprValuC+23], acc221 // copy acc to vreg[207]
s_nop 1                                            // 2 wait states required before reading vgpr

/* rC *= alpha batchElements=[(6, 0, 0, 0), (6, 1, 0, 0), (6, 0, 1, 0), (6, 1, 1, 0)] */
v_mov_b32 v24, v[vgprValuC+8]                      // store Cr
v_mul_f32 v[vgprValuC+8], s[sgprAlpha], v[vgprValuC+8] // *= alpha ( Cr = Ar * Cr)
_v_mac_f32 v[vgprValuC+8], -s[sgprAlpha+1], v[vgprValuC+9] // *= alpha ( Cr += -Ai * Ci )
v_mul_f32 v[vgprValuC+9], s[sgprAlpha], v[vgprValuC+9] // *= alpha ( Ci = Ar * Ci)
_v_mac_f32 v[vgprValuC+9], s[sgprAlpha+1], v24     // *= alpha ( Ci += Ai * Cr_backup )
v_mov_b32 v24, v[vgprValuC+10]                     // store Cr
v_mul_f32 v[vgprValuC+10], s[sgprAlpha], v[vgprValuC+10] // *= alpha ( Cr = Ar * Cr)
_v_mac_f32 v[vgprValuC+10], -s[sgprAlpha+1], v[vgprValuC+11] // *= alpha ( Cr += -Ai * Ci )
v_mul_f32 v[vgprValuC+11], s[sgprAlpha], v[vgprValuC+11] // *= alpha ( Ci = Ar * Ci)
_v_mac_f32 v[vgprValuC+11], s[sgprAlpha+1], v24    // *= alpha ( Ci += Ai * Cr_backup )
v_mov_b32 v24, v[vgprValuC+12]                     // store Cr
v_mul_f32 v[vgprValuC+12], s[sgprAlpha], v[vgprValuC+12] // *= alpha ( Cr = Ar * Cr)
_v_mac_f32 v[vgprValuC+12], -s[sgprAlpha+1], v[vgprValuC+13] // *= alpha ( Cr += -Ai * Ci )
v_mul_f32 v[vgprValuC+13], s[sgprAlpha], v[vgprValuC+13] // *= alpha ( Ci = Ar * Ci)
_v_mac_f32 v[vgprValuC+13], s[sgprAlpha+1], v24    // *= alpha ( Ci += Ai * Cr_backup )
	;; [unrolled: 5-line block ×7, first 2 shown]

/* apply mask, calc new C and issue writes */
s_mul_i32 s56, s[sgprStrideD1J], 104               // scale StrideD *= numRows(13) * bpe
s_add_u32  s[sgprSrdD+0], s[sgprSrdD+0], s56       // incToNextRow: gra SRD += inc(lower)
s_addc_u32  s[sgprSrdD+1], s[sgprSrdD+1], 0        // incToNextRow: gra SRD += inc(upper)
_buffer_store_b128 v[8:11], v6, s[sgprSrdD:sgprSrdD+3], 0, offen, offset:0,  nt // store D
_buffer_store_b128 v[12:15], v6, s[sgprSrdD:sgprSrdD+3], 0, offen, offset:1024,  nt // store D
s_lshl_b32  s56, s[sgprStrideD1J], 3               // incToNextRow: Scale by BPE
s_add_u32  s[sgprSrdD+0], s[sgprSrdD+0], s56       // incToNextRow: gra SRD += inc(lower)
s_addc_u32  s[sgprSrdD+1], s[sgprSrdD+1], 0        // incToNextRow: gra SRD += inc(upper)
_buffer_store_b128 v[16:19], v6, s[sgprSrdD:sgprSrdD+3], 0, offen, offset:0,  nt // store D
_buffer_store_b128 v[20:23], v6, s[sgprSrdD:sgprSrdD+3], 0, offen, offset:1024,  nt // store D
s_nop 0                                            // 1 wait state required when next inst writes vgprs held by previous dwordx4 store inst
/* optSingleColVgpr=1 optSharedColVgpr=0 optSGPRUsage=BufferLoad_Mask optSrdIncForRow=1 */
s_sleep 3 // optimization: sync and wait
s_barrier

/******************************************/
/* Global Write Alpha Batch #13 (d1,d0,vc1,vc0) = */
/*    (6,0,2,0:vw2); (6,1,2,0:vw2); (6,0,3,0:vw2); (6,1,3,0:vw2) */
/******************************************/

/* calc coords, apply mask, and issue loads (if necessary) */
/* (d1,vc1,d0,vc0)=(6,2,0,0) */
/* (d1,vc1,d0,vc0)=(6,2,1,0) */
	;; [unrolled: 1-line block ×4, first 2 shown]
v_accvgpr_read_b32 v[vgprValuC+8], acc98 // copy acc to vreg[208]
v_accvgpr_read_b32 v[vgprValuC+9], acc210 // copy acc to vreg[209]
v_accvgpr_read_b32 v[vgprValuC+10], acc102 // copy acc to vreg[210]
v_accvgpr_read_b32 v[vgprValuC+11], acc214 // copy acc to vreg[211]
v_accvgpr_read_b32 v[vgprValuC+12], acc106 // copy acc to vreg[212]
v_accvgpr_read_b32 v[vgprValuC+13], acc218 // copy acc to vreg[213]
v_accvgpr_read_b32 v[vgprValuC+14], acc110 // copy acc to vreg[214]
v_accvgpr_read_b32 v[vgprValuC+15], acc222 // copy acc to vreg[215]
v_accvgpr_read_b32 v[vgprValuC+16], acc99 // copy acc to vreg[216]
v_accvgpr_read_b32 v[vgprValuC+17], acc211 // copy acc to vreg[217]
v_accvgpr_read_b32 v[vgprValuC+18], acc103 // copy acc to vreg[218]
v_accvgpr_read_b32 v[vgprValuC+19], acc215 // copy acc to vreg[219]
v_accvgpr_read_b32 v[vgprValuC+20], acc107 // copy acc to vreg[220]
v_accvgpr_read_b32 v[vgprValuC+21], acc219 // copy acc to vreg[221]
v_accvgpr_read_b32 v[vgprValuC+22], acc111 // copy acc to vreg[222]
v_accvgpr_read_b32 v[vgprValuC+23], acc223 // copy acc to vreg[223]
s_nop 1                                            // 2 wait states required before reading vgpr

/* rC *= alpha batchElements=[(6, 0, 2, 0), (6, 1, 2, 0), (6, 0, 3, 0), (6, 1, 3, 0)] */
v_mov_b32 v24, v[vgprValuC+8]                      // store Cr
v_mul_f32 v[vgprValuC+8], s[sgprAlpha], v[vgprValuC+8] // *= alpha ( Cr = Ar * Cr)
_v_mac_f32 v[vgprValuC+8], -s[sgprAlpha+1], v[vgprValuC+9] // *= alpha ( Cr += -Ai * Ci )
v_mul_f32 v[vgprValuC+9], s[sgprAlpha], v[vgprValuC+9] // *= alpha ( Ci = Ar * Ci)
_v_mac_f32 v[vgprValuC+9], s[sgprAlpha+1], v24     // *= alpha ( Ci += Ai * Cr_backup )
v_mov_b32 v24, v[vgprValuC+10]                     // store Cr
v_mul_f32 v[vgprValuC+10], s[sgprAlpha], v[vgprValuC+10] // *= alpha ( Cr = Ar * Cr)
_v_mac_f32 v[vgprValuC+10], -s[sgprAlpha+1], v[vgprValuC+11] // *= alpha ( Cr += -Ai * Ci )
v_mul_f32 v[vgprValuC+11], s[sgprAlpha], v[vgprValuC+11] // *= alpha ( Ci = Ar * Ci)
_v_mac_f32 v[vgprValuC+11], s[sgprAlpha+1], v24    // *= alpha ( Ci += Ai * Cr_backup )
v_mov_b32 v24, v[vgprValuC+12]                     // store Cr
v_mul_f32 v[vgprValuC+12], s[sgprAlpha], v[vgprValuC+12] // *= alpha ( Cr = Ar * Cr)
_v_mac_f32 v[vgprValuC+12], -s[sgprAlpha+1], v[vgprValuC+13] // *= alpha ( Cr += -Ai * Ci )
v_mul_f32 v[vgprValuC+13], s[sgprAlpha], v[vgprValuC+13] // *= alpha ( Ci = Ar * Ci)
_v_mac_f32 v[vgprValuC+13], s[sgprAlpha+1], v24    // *= alpha ( Ci += Ai * Cr_backup )
v_mov_b32 v24, v[vgprValuC+14]                     // store Cr
v_mul_f32 v[vgprValuC+14], s[sgprAlpha], v[vgprValuC+14] // *= alpha ( Cr = Ar * Cr)
_v_mac_f32 v[vgprValuC+14], -s[sgprAlpha+1], v[vgprValuC+15] // *= alpha ( Cr += -Ai * Ci )
v_mul_f32 v[vgprValuC+15], s[sgprAlpha], v[vgprValuC+15] // *= alpha ( Ci = Ar * Ci)
_v_mac_f32 v[vgprValuC+15], s[sgprAlpha+1], v24    // *= alpha ( Ci += Ai * Cr_backup )
v_mov_b32 v24, v[vgprValuC+16]                     // store Cr
v_mul_f32 v[vgprValuC+16], s[sgprAlpha], v[vgprValuC+16] // *= alpha ( Cr = Ar * Cr)
_v_mac_f32 v[vgprValuC+16], -s[sgprAlpha+1], v[vgprValuC+17] // *= alpha ( Cr += -Ai * Ci )
v_mul_f32 v[vgprValuC+17], s[sgprAlpha], v[vgprValuC+17] // *= alpha ( Ci = Ar * Ci)
_v_mac_f32 v[vgprValuC+17], s[sgprAlpha+1], v24    // *= alpha ( Ci += Ai * Cr_backup )
v_mov_b32 v24, v[vgprValuC+18]                     // store Cr
v_mul_f32 v[vgprValuC+18], s[sgprAlpha], v[vgprValuC+18] // *= alpha ( Cr = Ar * Cr)
_v_mac_f32 v[vgprValuC+18], -s[sgprAlpha+1], v[vgprValuC+19] // *= alpha ( Cr += -Ai * Ci )
v_mul_f32 v[vgprValuC+19], s[sgprAlpha], v[vgprValuC+19] // *= alpha ( Ci = Ar * Ci)
_v_mac_f32 v[vgprValuC+19], s[sgprAlpha+1], v24    // *= alpha ( Ci += Ai * Cr_backup )
v_mov_b32 v24, v[vgprValuC+20]                     // store Cr
v_mul_f32 v[vgprValuC+20], s[sgprAlpha], v[vgprValuC+20] // *= alpha ( Cr = Ar * Cr)
_v_mac_f32 v[vgprValuC+20], -s[sgprAlpha+1], v[vgprValuC+21] // *= alpha ( Cr += -Ai * Ci )
v_mul_f32 v[vgprValuC+21], s[sgprAlpha], v[vgprValuC+21] // *= alpha ( Ci = Ar * Ci)
_v_mac_f32 v[vgprValuC+21], s[sgprAlpha+1], v24    // *= alpha ( Ci += Ai * Cr_backup )
v_mov_b32 v24, v[vgprValuC+22]                     // store Cr
v_mul_f32 v[vgprValuC+22], s[sgprAlpha], v[vgprValuC+22] // *= alpha ( Cr = Ar * Cr)
_v_mac_f32 v[vgprValuC+22], -s[sgprAlpha+1], v[vgprValuC+23] // *= alpha ( Cr += -Ai * Ci )
v_mul_f32 v[vgprValuC+23], s[sgprAlpha], v[vgprValuC+23] // *= alpha ( Ci = Ar * Ci)
_v_mac_f32 v[vgprValuC+23], s[sgprAlpha+1], v24    // *= alpha ( Ci += Ai * Cr_backup )

/* apply mask, calc new C and issue writes */
s_lshl_b32  s56, s[sgprStrideD1J], 3               // incToNextRow: Scale by BPE
s_add_u32  s[sgprSrdD+0], s[sgprSrdD+0], s56       // incToNextRow: gra SRD += inc(lower)
s_addc_u32  s[sgprSrdD+1], s[sgprSrdD+1], 0        // incToNextRow: gra SRD += inc(upper)
_buffer_store_b128 v[8:11], v6, s[sgprSrdD:sgprSrdD+3], 0, offen, offset:0,  nt // store D
_buffer_store_b128 v[12:15], v6, s[sgprSrdD:sgprSrdD+3], 0, offen, offset:1024,  nt // store D
s_lshl_b32  s56, s[sgprStrideD1J], 3               // incToNextRow: Scale by BPE
s_add_u32  s[sgprSrdD+0], s[sgprSrdD+0], s56       // incToNextRow: gra SRD += inc(lower)
s_addc_u32  s[sgprSrdD+1], s[sgprSrdD+1], 0        // incToNextRow: gra SRD += inc(upper)
_buffer_store_b128 v[16:19], v6, s[sgprSrdD:sgprSrdD+3], 0, offen, offset:0,  nt // store D
_buffer_store_b128 v[20:23], v6, s[sgprSrdD:sgprSrdD+3], 0, offen, offset:1024,  nt // store D
s_nop 0                                            // 1 wait state required when next inst writes vgprs held by previous dwordx4 store inst
s_branch label_GW_End_44                           // jump to end
GW_B0_E1_36:

/* edge=1, allocate 6 sgpr. perBatchTmpS=4 perBatchMaskS=2 perElementMaskS=0 elementsPerBatch=4 */
/* optSingleColVgpr=0 optSharedColVgpr=0 optSGPRUsage=BufferLoad_Edge_Mask optSrdIncForRow=0 */
s_sleep 3 // optimization: sync and wait
s_barrier

/******************************************/
/* Global Write Alpha Edge Batch #0 (d1,d0,vc1,vc0) = */
/*    (0,0,0,0:vw1); (0,0,0,1:vw1); (0,1,0,0:vw1); (0,1,0,1:vw1) */
/******************************************/

/* calc coords, apply mask, and issue loads (if necessary) */
/* (d1,vc1,d0,vc0)=(0,0,0,0) */
v_cmp_lt_u32 s[56:57], v0, s[sgprSizeI]            // coord0 < size0
v_cmp_lt_u32 s[60:61], v1, s[sgprSizeJ]            // coord1 < size1
s_and_b64 s[60:61], s[56:57], s[60:61]             // in0 && in1
_v_add_lshl_u32 v6, v3, v0, 0x3                    // scaleToBpe: accumulate d0 lower and *= bpe into Cin addr
v_cndmask_b32 v6, -1, v6, s[60:61]                 // LDD clip if OOB. offset
/* (d1,vc1,d0,vc0)=(0,0,0,1) */
_v_add_co_u32 v4, vcc, v0, 1                       // coord0.1: coord0 += d0*sg0*VW + vc0
v_cmp_lt_u32 s[56:57], v4, s[sgprSizeI]            // coord0 < size0
v_cmp_lt_u32 s[60:61], v1, s[sgprSizeJ]            // coord1 < size1
s_and_b64 s[60:61], s[56:57], s[60:61]             // in0 && in1
_v_add_lshl_u32 v7, v3, v4, 0x3                    // scaleToBpe: accumulate d0 lower and *= bpe into Cin addr
v_cndmask_b32 v7, -1, v7, s[60:61]                 // LDD clip if OOB. offset
/* (d1,vc1,d0,vc0)=(0,0,1,0) */
s_mov_b32 s56, 128                                 // coordOffset0 d0=1 vc0=0
_v_add_co_u32 v4, vcc, v0, s56                     // coord0.2: coord0 += d0*sg0*VW + vc0
v_cmp_lt_u32 s[56:57], v4, s[sgprSizeI]            // coord0 < size0
v_cmp_lt_u32 s[60:61], v1, s[sgprSizeJ]            // coord1 < size1
s_and_b64 s[60:61], s[56:57], s[60:61]             // in0 && in1
_v_add_lshl_u32 v12, v3, v4, 0x3                   // scaleToBpe: accumulate d0 lower and *= bpe into Cin addr
v_cndmask_b32 v12, -1, v12, s[60:61]               // LDD clip if OOB. offset
/* (d1,vc1,d0,vc0)=(0,0,1,1) */
s_mov_b32 s56, 129                                 // coordOffset0 d0=1 vc0=1
_v_add_co_u32 v4, vcc, v0, s56                     // coord0.2: coord0 += d0*sg0*VW + vc0
v_cmp_lt_u32 s[56:57], v4, s[sgprSizeI]            // coord0 < size0
v_cmp_lt_u32 s[60:61], v1, s[sgprSizeJ]            // coord1 < size1
s_and_b64 s[60:61], s[56:57], s[60:61]             // in0 && in1
_v_add_lshl_u32 v13, v3, v4, 0x3                   // scaleToBpe: accumulate d0 lower and *= bpe into Cin addr
v_cndmask_b32 v13, -1, v13, s[60:61]               // LDD clip if OOB. offset
v_accvgpr_read_b32 v[vgprValuC+8], acc0 // copy acc to vreg[0]
v_accvgpr_read_b32 v[vgprValuC+9], acc112 // copy acc to vreg[1]
v_accvgpr_read_b32 v[vgprValuC+10], acc4 // copy acc to vreg[2]
v_accvgpr_read_b32 v[vgprValuC+11], acc116 // copy acc to vreg[3]
v_accvgpr_read_b32 v[vgprValuC+14], acc8 // copy acc to vreg[4]
v_accvgpr_read_b32 v[vgprValuC+15], acc120 // copy acc to vreg[5]
v_accvgpr_read_b32 v[vgprValuC+16], acc12 // copy acc to vreg[6]
v_accvgpr_read_b32 v[vgprValuC+17], acc124 // copy acc to vreg[7]
s_nop 1                                            // 2 wait states required before reading vgpr

/* rC *= alpha batchElements=[(0, 0, 0, 0), (0, 0, 0, 1), (0, 1, 0, 0), (0, 1, 0, 1)] */
v_mov_b32 v18, v[vgprValuC+8]                      // store Cr
v_mul_f32 v[vgprValuC+8], s[sgprAlpha], v[vgprValuC+8] // *= alpha ( Cr = Ar * Cr)
_v_mac_f32 v[vgprValuC+8], -s[sgprAlpha+1], v[vgprValuC+9] // *= alpha ( Cr += -Ai * Ci )
v_mul_f32 v[vgprValuC+9], s[sgprAlpha], v[vgprValuC+9] // *= alpha ( Ci = Ar * Ci)
_v_mac_f32 v[vgprValuC+9], s[sgprAlpha+1], v18     // *= alpha ( Ci += Ai * Cr_backup )
v_mov_b32 v18, v[vgprValuC+10]                     // store Cr
v_mul_f32 v[vgprValuC+10], s[sgprAlpha], v[vgprValuC+10] // *= alpha ( Cr = Ar * Cr)
_v_mac_f32 v[vgprValuC+10], -s[sgprAlpha+1], v[vgprValuC+11] // *= alpha ( Cr += -Ai * Ci )
v_mul_f32 v[vgprValuC+11], s[sgprAlpha], v[vgprValuC+11] // *= alpha ( Ci = Ar * Ci)
_v_mac_f32 v[vgprValuC+11], s[sgprAlpha+1], v18    // *= alpha ( Ci += Ai * Cr_backup )
v_mov_b32 v18, v[vgprValuC+14]                     // store Cr
v_mul_f32 v[vgprValuC+14], s[sgprAlpha], v[vgprValuC+14] // *= alpha ( Cr = Ar * Cr)
_v_mac_f32 v[vgprValuC+14], -s[sgprAlpha+1], v[vgprValuC+15] // *= alpha ( Cr += -Ai * Ci )
v_mul_f32 v[vgprValuC+15], s[sgprAlpha], v[vgprValuC+15] // *= alpha ( Ci = Ar * Ci)
_v_mac_f32 v[vgprValuC+15], s[sgprAlpha+1], v18    // *= alpha ( Ci += Ai * Cr_backup )
v_mov_b32 v18, v[vgprValuC+16]                     // store Cr
v_mul_f32 v[vgprValuC+16], s[sgprAlpha], v[vgprValuC+16] // *= alpha ( Cr = Ar * Cr)
_v_mac_f32 v[vgprValuC+16], -s[sgprAlpha+1], v[vgprValuC+17] // *= alpha ( Cr += -Ai * Ci )
v_mul_f32 v[vgprValuC+17], s[sgprAlpha], v[vgprValuC+17] // *= alpha ( Ci = Ar * Ci)
_v_mac_f32 v[vgprValuC+17], s[sgprAlpha+1], v18    // *= alpha ( Ci += Ai * Cr_backup )

/* apply mask, calc new C and issue writes */
_buffer_store_b64 v[8:9], v6, s[sgprSrdD:sgprSrdD+3], 0, offen, offset:0,  nt // store D
_buffer_store_b64 v[10:11], v7, s[sgprSrdD:sgprSrdD+3], 0, offen, offset:0,  nt // store D
	;; [unrolled: 1-line block ×4, first 2 shown]
s_nop 0                                            // 1 wait state required when next inst writes vgprs held by previous dwordx4 store inst
/* optSingleColVgpr=0 optSharedColVgpr=0 optSGPRUsage=BufferLoad_Edge_Mask optSrdIncForRow=0 */
s_sleep 3 // optimization: sync and wait
s_barrier

/******************************************/
/* Global Write Alpha Edge Batch #1 (d1,d0,vc1,vc0) = */
/*    (0,0,1,0:vw1); (0,0,1,1:vw1); (0,1,1,0:vw1); (0,1,1,1:vw1) */
/******************************************/

/* calc coords, apply mask, and issue loads (if necessary) */
/* (d1,vc1,d0,vc0)=(0,1,0,0) */
_v_add_co_u32 v1, vcc, v1, 1                       // coord1.1: coord1Vgpr += d1*sg1*VW + vc1

/* Fix for UseInitialStridesCD, emitAddressSetupCode */
_v_add_u32 v2, v2, s[sgprStrideC1J]                // ROWINC- Move cinRowPtr to next row
_v_add_u32 v3, v3, s[sgprStrideD1J]                // Move coutRowPtr to next row
v_cmp_lt_u32 s[56:57], v0, s[sgprSizeI]            // coord0 < size0
v_cmp_lt_u32 s[60:61], v1, s[sgprSizeJ]            // coord1 < size1
s_and_b64 s[60:61], s[56:57], s[60:61]             // in0 && in1
_v_add_lshl_u32 v6, v3, v0, 0x3                    // scaleToBpe: accumulate d0 lower and *= bpe into Cin addr
v_cndmask_b32 v6, -1, v6, s[60:61]                 // LDD clip if OOB. offset
/* (d1,vc1,d0,vc0)=(0,1,0,1) */
_v_add_co_u32 v4, vcc, v0, 1                       // coord0.1: coord0 += d0*sg0*VW + vc0
v_cmp_lt_u32 s[56:57], v4, s[sgprSizeI]            // coord0 < size0
v_cmp_lt_u32 s[60:61], v1, s[sgprSizeJ]            // coord1 < size1
s_and_b64 s[60:61], s[56:57], s[60:61]             // in0 && in1
_v_add_lshl_u32 v7, v3, v4, 0x3                    // scaleToBpe: accumulate d0 lower and *= bpe into Cin addr
v_cndmask_b32 v7, -1, v7, s[60:61]                 // LDD clip if OOB. offset
/* (d1,vc1,d0,vc0)=(0,1,1,0) */
s_mov_b32 s56, 128                                 // coordOffset0 d0=1 vc0=0
_v_add_co_u32 v4, vcc, v0, s56                     // coord0.2: coord0 += d0*sg0*VW + vc0
v_cmp_lt_u32 s[56:57], v4, s[sgprSizeI]            // coord0 < size0
v_cmp_lt_u32 s[60:61], v1, s[sgprSizeJ]            // coord1 < size1
s_and_b64 s[60:61], s[56:57], s[60:61]             // in0 && in1
_v_add_lshl_u32 v12, v3, v4, 0x3                   // scaleToBpe: accumulate d0 lower and *= bpe into Cin addr
v_cndmask_b32 v12, -1, v12, s[60:61]               // LDD clip if OOB. offset
/* (d1,vc1,d0,vc0)=(0,1,1,1) */
s_mov_b32 s56, 129                                 // coordOffset0 d0=1 vc0=1
_v_add_co_u32 v4, vcc, v0, s56                     // coord0.2: coord0 += d0*sg0*VW + vc0
v_cmp_lt_u32 s[56:57], v4, s[sgprSizeI]            // coord0 < size0
v_cmp_lt_u32 s[60:61], v1, s[sgprSizeJ]            // coord1 < size1
s_and_b64 s[60:61], s[56:57], s[60:61]             // in0 && in1
_v_add_lshl_u32 v13, v3, v4, 0x3                   // scaleToBpe: accumulate d0 lower and *= bpe into Cin addr
v_cndmask_b32 v13, -1, v13, s[60:61]               // LDD clip if OOB. offset
v_accvgpr_read_b32 v[vgprValuC+8], acc1 // copy acc to vreg[8]
v_accvgpr_read_b32 v[vgprValuC+9], acc113 // copy acc to vreg[9]
v_accvgpr_read_b32 v[vgprValuC+10], acc5 // copy acc to vreg[10]
v_accvgpr_read_b32 v[vgprValuC+11], acc117 // copy acc to vreg[11]
v_accvgpr_read_b32 v[vgprValuC+14], acc9 // copy acc to vreg[12]
v_accvgpr_read_b32 v[vgprValuC+15], acc121 // copy acc to vreg[13]
v_accvgpr_read_b32 v[vgprValuC+16], acc13 // copy acc to vreg[14]
v_accvgpr_read_b32 v[vgprValuC+17], acc125 // copy acc to vreg[15]
s_nop 1                                            // 2 wait states required before reading vgpr

/* rC *= alpha batchElements=[(0, 0, 1, 0), (0, 0, 1, 1), (0, 1, 1, 0), (0, 1, 1, 1)] */
v_mov_b32 v18, v[vgprValuC+8]                      // store Cr
v_mul_f32 v[vgprValuC+8], s[sgprAlpha], v[vgprValuC+8] // *= alpha ( Cr = Ar * Cr)
_v_mac_f32 v[vgprValuC+8], -s[sgprAlpha+1], v[vgprValuC+9] // *= alpha ( Cr += -Ai * Ci )
v_mul_f32 v[vgprValuC+9], s[sgprAlpha], v[vgprValuC+9] // *= alpha ( Ci = Ar * Ci)
_v_mac_f32 v[vgprValuC+9], s[sgprAlpha+1], v18     // *= alpha ( Ci += Ai * Cr_backup )
v_mov_b32 v18, v[vgprValuC+10]                     // store Cr
v_mul_f32 v[vgprValuC+10], s[sgprAlpha], v[vgprValuC+10] // *= alpha ( Cr = Ar * Cr)
_v_mac_f32 v[vgprValuC+10], -s[sgprAlpha+1], v[vgprValuC+11] // *= alpha ( Cr += -Ai * Ci )
v_mul_f32 v[vgprValuC+11], s[sgprAlpha], v[vgprValuC+11] // *= alpha ( Ci = Ar * Ci)
_v_mac_f32 v[vgprValuC+11], s[sgprAlpha+1], v18    // *= alpha ( Ci += Ai * Cr_backup )
v_mov_b32 v18, v[vgprValuC+14]                     // store Cr
v_mul_f32 v[vgprValuC+14], s[sgprAlpha], v[vgprValuC+14] // *= alpha ( Cr = Ar * Cr)
_v_mac_f32 v[vgprValuC+14], -s[sgprAlpha+1], v[vgprValuC+15] // *= alpha ( Cr += -Ai * Ci )
v_mul_f32 v[vgprValuC+15], s[sgprAlpha], v[vgprValuC+15] // *= alpha ( Ci = Ar * Ci)
_v_mac_f32 v[vgprValuC+15], s[sgprAlpha+1], v18    // *= alpha ( Ci += Ai * Cr_backup )
	;; [unrolled: 5-line block ×3, first 2 shown]

/* apply mask, calc new C and issue writes */
_buffer_store_b64 v[8:9], v6, s[sgprSrdD:sgprSrdD+3], 0, offen, offset:0,  nt // store D
_buffer_store_b64 v[10:11], v7, s[sgprSrdD:sgprSrdD+3], 0, offen, offset:0,  nt // store D
	;; [unrolled: 1-line block ×4, first 2 shown]
s_nop 0                                            // 1 wait state required when next inst writes vgprs held by previous dwordx4 store inst
/* optSingleColVgpr=0 optSharedColVgpr=0 optSGPRUsage=BufferLoad_Edge_Mask optSrdIncForRow=0 */
s_sleep 3 // optimization: sync and wait
s_barrier

/******************************************/
/* Global Write Alpha Edge Batch #2 (d1,d0,vc1,vc0) = */
/*    (0,0,2,0:vw1); (0,0,2,1:vw1); (0,1,2,0:vw1); (0,1,2,1:vw1) */
/******************************************/

/* calc coords, apply mask, and issue loads (if necessary) */
/* (d1,vc1,d0,vc0)=(0,2,0,0) */
_v_add_co_u32 v1, vcc, v1, 1                       // coord1.1: coord1Vgpr += d1*sg1*VW + vc1

/* Fix for UseInitialStridesCD, emitAddressSetupCode */
_v_add_u32 v2, v2, s[sgprStrideC1J]                // ROWINC- Move cinRowPtr to next row
_v_add_u32 v3, v3, s[sgprStrideD1J]                // Move coutRowPtr to next row
v_cmp_lt_u32 s[56:57], v0, s[sgprSizeI]            // coord0 < size0
v_cmp_lt_u32 s[60:61], v1, s[sgprSizeJ]            // coord1 < size1
s_and_b64 s[60:61], s[56:57], s[60:61]             // in0 && in1
_v_add_lshl_u32 v6, v3, v0, 0x3                    // scaleToBpe: accumulate d0 lower and *= bpe into Cin addr
v_cndmask_b32 v6, -1, v6, s[60:61]                 // LDD clip if OOB. offset
/* (d1,vc1,d0,vc0)=(0,2,0,1) */
_v_add_co_u32 v4, vcc, v0, 1                       // coord0.1: coord0 += d0*sg0*VW + vc0
v_cmp_lt_u32 s[56:57], v4, s[sgprSizeI]            // coord0 < size0
v_cmp_lt_u32 s[60:61], v1, s[sgprSizeJ]            // coord1 < size1
s_and_b64 s[60:61], s[56:57], s[60:61]             // in0 && in1
_v_add_lshl_u32 v7, v3, v4, 0x3                    // scaleToBpe: accumulate d0 lower and *= bpe into Cin addr
v_cndmask_b32 v7, -1, v7, s[60:61]                 // LDD clip if OOB. offset
/* (d1,vc1,d0,vc0)=(0,2,1,0) */
s_mov_b32 s56, 128                                 // coordOffset0 d0=1 vc0=0
_v_add_co_u32 v4, vcc, v0, s56                     // coord0.2: coord0 += d0*sg0*VW + vc0
v_cmp_lt_u32 s[56:57], v4, s[sgprSizeI]            // coord0 < size0
v_cmp_lt_u32 s[60:61], v1, s[sgprSizeJ]            // coord1 < size1
s_and_b64 s[60:61], s[56:57], s[60:61]             // in0 && in1
_v_add_lshl_u32 v12, v3, v4, 0x3                   // scaleToBpe: accumulate d0 lower and *= bpe into Cin addr
v_cndmask_b32 v12, -1, v12, s[60:61]               // LDD clip if OOB. offset
/* (d1,vc1,d0,vc0)=(0,2,1,1) */
s_mov_b32 s56, 129                                 // coordOffset0 d0=1 vc0=1
_v_add_co_u32 v4, vcc, v0, s56                     // coord0.2: coord0 += d0*sg0*VW + vc0
v_cmp_lt_u32 s[56:57], v4, s[sgprSizeI]            // coord0 < size0
v_cmp_lt_u32 s[60:61], v1, s[sgprSizeJ]            // coord1 < size1
s_and_b64 s[60:61], s[56:57], s[60:61]             // in0 && in1
_v_add_lshl_u32 v13, v3, v4, 0x3                   // scaleToBpe: accumulate d0 lower and *= bpe into Cin addr
v_cndmask_b32 v13, -1, v13, s[60:61]               // LDD clip if OOB. offset
v_accvgpr_read_b32 v[vgprValuC+8], acc2 // copy acc to vreg[16]
v_accvgpr_read_b32 v[vgprValuC+9], acc114 // copy acc to vreg[17]
v_accvgpr_read_b32 v[vgprValuC+10], acc6 // copy acc to vreg[18]
v_accvgpr_read_b32 v[vgprValuC+11], acc118 // copy acc to vreg[19]
v_accvgpr_read_b32 v[vgprValuC+14], acc10 // copy acc to vreg[20]
v_accvgpr_read_b32 v[vgprValuC+15], acc122 // copy acc to vreg[21]
v_accvgpr_read_b32 v[vgprValuC+16], acc14 // copy acc to vreg[22]
v_accvgpr_read_b32 v[vgprValuC+17], acc126 // copy acc to vreg[23]
s_nop 1                                            // 2 wait states required before reading vgpr

/* rC *= alpha batchElements=[(0, 0, 2, 0), (0, 0, 2, 1), (0, 1, 2, 0), (0, 1, 2, 1)] */
v_mov_b32 v18, v[vgprValuC+8]                      // store Cr
v_mul_f32 v[vgprValuC+8], s[sgprAlpha], v[vgprValuC+8] // *= alpha ( Cr = Ar * Cr)
_v_mac_f32 v[vgprValuC+8], -s[sgprAlpha+1], v[vgprValuC+9] // *= alpha ( Cr += -Ai * Ci )
v_mul_f32 v[vgprValuC+9], s[sgprAlpha], v[vgprValuC+9] // *= alpha ( Ci = Ar * Ci)
_v_mac_f32 v[vgprValuC+9], s[sgprAlpha+1], v18     // *= alpha ( Ci += Ai * Cr_backup )
v_mov_b32 v18, v[vgprValuC+10]                     // store Cr
v_mul_f32 v[vgprValuC+10], s[sgprAlpha], v[vgprValuC+10] // *= alpha ( Cr = Ar * Cr)
_v_mac_f32 v[vgprValuC+10], -s[sgprAlpha+1], v[vgprValuC+11] // *= alpha ( Cr += -Ai * Ci )
v_mul_f32 v[vgprValuC+11], s[sgprAlpha], v[vgprValuC+11] // *= alpha ( Ci = Ar * Ci)
_v_mac_f32 v[vgprValuC+11], s[sgprAlpha+1], v18    // *= alpha ( Ci += Ai * Cr_backup )
v_mov_b32 v18, v[vgprValuC+14]                     // store Cr
v_mul_f32 v[vgprValuC+14], s[sgprAlpha], v[vgprValuC+14] // *= alpha ( Cr = Ar * Cr)
_v_mac_f32 v[vgprValuC+14], -s[sgprAlpha+1], v[vgprValuC+15] // *= alpha ( Cr += -Ai * Ci )
v_mul_f32 v[vgprValuC+15], s[sgprAlpha], v[vgprValuC+15] // *= alpha ( Ci = Ar * Ci)
_v_mac_f32 v[vgprValuC+15], s[sgprAlpha+1], v18    // *= alpha ( Ci += Ai * Cr_backup )
	;; [unrolled: 5-line block ×3, first 2 shown]

/* apply mask, calc new C and issue writes */
_buffer_store_b64 v[8:9], v6, s[sgprSrdD:sgprSrdD+3], 0, offen, offset:0,  nt // store D
_buffer_store_b64 v[10:11], v7, s[sgprSrdD:sgprSrdD+3], 0, offen, offset:0,  nt // store D
	;; [unrolled: 1-line block ×4, first 2 shown]
s_nop 0                                            // 1 wait state required when next inst writes vgprs held by previous dwordx4 store inst
/* optSingleColVgpr=0 optSharedColVgpr=0 optSGPRUsage=BufferLoad_Edge_Mask optSrdIncForRow=0 */
s_sleep 3 // optimization: sync and wait
s_barrier

/******************************************/
/* Global Write Alpha Edge Batch #3 (d1,d0,vc1,vc0) = */
/*    (0,0,3,0:vw1); (0,0,3,1:vw1); (0,1,3,0:vw1); (0,1,3,1:vw1) */
/******************************************/

/* calc coords, apply mask, and issue loads (if necessary) */
/* (d1,vc1,d0,vc0)=(0,3,0,0) */
_v_add_co_u32 v1, vcc, v1, 1                       // coord1.1: coord1Vgpr += d1*sg1*VW + vc1

/* Fix for UseInitialStridesCD, emitAddressSetupCode */
_v_add_u32 v2, v2, s[sgprStrideC1J]                // ROWINC- Move cinRowPtr to next row
_v_add_u32 v3, v3, s[sgprStrideD1J]                // Move coutRowPtr to next row
v_cmp_lt_u32 s[56:57], v0, s[sgprSizeI]            // coord0 < size0
v_cmp_lt_u32 s[60:61], v1, s[sgprSizeJ]            // coord1 < size1
s_and_b64 s[60:61], s[56:57], s[60:61]             // in0 && in1
_v_add_lshl_u32 v6, v3, v0, 0x3                    // scaleToBpe: accumulate d0 lower and *= bpe into Cin addr
v_cndmask_b32 v6, -1, v6, s[60:61]                 // LDD clip if OOB. offset
/* (d1,vc1,d0,vc0)=(0,3,0,1) */
_v_add_co_u32 v4, vcc, v0, 1                       // coord0.1: coord0 += d0*sg0*VW + vc0
v_cmp_lt_u32 s[56:57], v4, s[sgprSizeI]            // coord0 < size0
v_cmp_lt_u32 s[60:61], v1, s[sgprSizeJ]            // coord1 < size1
s_and_b64 s[60:61], s[56:57], s[60:61]             // in0 && in1
_v_add_lshl_u32 v7, v3, v4, 0x3                    // scaleToBpe: accumulate d0 lower and *= bpe into Cin addr
v_cndmask_b32 v7, -1, v7, s[60:61]                 // LDD clip if OOB. offset
/* (d1,vc1,d0,vc0)=(0,3,1,0) */
s_mov_b32 s56, 128                                 // coordOffset0 d0=1 vc0=0
_v_add_co_u32 v4, vcc, v0, s56                     // coord0.2: coord0 += d0*sg0*VW + vc0
v_cmp_lt_u32 s[56:57], v4, s[sgprSizeI]            // coord0 < size0
v_cmp_lt_u32 s[60:61], v1, s[sgprSizeJ]            // coord1 < size1
s_and_b64 s[60:61], s[56:57], s[60:61]             // in0 && in1
_v_add_lshl_u32 v12, v3, v4, 0x3                   // scaleToBpe: accumulate d0 lower and *= bpe into Cin addr
v_cndmask_b32 v12, -1, v12, s[60:61]               // LDD clip if OOB. offset
/* (d1,vc1,d0,vc0)=(0,3,1,1) */
s_mov_b32 s56, 129                                 // coordOffset0 d0=1 vc0=1
_v_add_co_u32 v4, vcc, v0, s56                     // coord0.2: coord0 += d0*sg0*VW + vc0
v_cmp_lt_u32 s[56:57], v4, s[sgprSizeI]            // coord0 < size0
v_cmp_lt_u32 s[60:61], v1, s[sgprSizeJ]            // coord1 < size1
s_and_b64 s[60:61], s[56:57], s[60:61]             // in0 && in1
_v_add_lshl_u32 v13, v3, v4, 0x3                   // scaleToBpe: accumulate d0 lower and *= bpe into Cin addr
v_cndmask_b32 v13, -1, v13, s[60:61]               // LDD clip if OOB. offset
v_accvgpr_read_b32 v[vgprValuC+8], acc3 // copy acc to vreg[24]
v_accvgpr_read_b32 v[vgprValuC+9], acc115 // copy acc to vreg[25]
v_accvgpr_read_b32 v[vgprValuC+10], acc7 // copy acc to vreg[26]
v_accvgpr_read_b32 v[vgprValuC+11], acc119 // copy acc to vreg[27]
v_accvgpr_read_b32 v[vgprValuC+14], acc11 // copy acc to vreg[28]
v_accvgpr_read_b32 v[vgprValuC+15], acc123 // copy acc to vreg[29]
v_accvgpr_read_b32 v[vgprValuC+16], acc15 // copy acc to vreg[30]
v_accvgpr_read_b32 v[vgprValuC+17], acc127 // copy acc to vreg[31]
s_nop 1                                            // 2 wait states required before reading vgpr

/* rC *= alpha batchElements=[(0, 0, 3, 0), (0, 0, 3, 1), (0, 1, 3, 0), (0, 1, 3, 1)] */
v_mov_b32 v18, v[vgprValuC+8]                      // store Cr
v_mul_f32 v[vgprValuC+8], s[sgprAlpha], v[vgprValuC+8] // *= alpha ( Cr = Ar * Cr)
_v_mac_f32 v[vgprValuC+8], -s[sgprAlpha+1], v[vgprValuC+9] // *= alpha ( Cr += -Ai * Ci )
v_mul_f32 v[vgprValuC+9], s[sgprAlpha], v[vgprValuC+9] // *= alpha ( Ci = Ar * Ci)
_v_mac_f32 v[vgprValuC+9], s[sgprAlpha+1], v18     // *= alpha ( Ci += Ai * Cr_backup )
v_mov_b32 v18, v[vgprValuC+10]                     // store Cr
v_mul_f32 v[vgprValuC+10], s[sgprAlpha], v[vgprValuC+10] // *= alpha ( Cr = Ar * Cr)
_v_mac_f32 v[vgprValuC+10], -s[sgprAlpha+1], v[vgprValuC+11] // *= alpha ( Cr += -Ai * Ci )
v_mul_f32 v[vgprValuC+11], s[sgprAlpha], v[vgprValuC+11] // *= alpha ( Ci = Ar * Ci)
_v_mac_f32 v[vgprValuC+11], s[sgprAlpha+1], v18    // *= alpha ( Ci += Ai * Cr_backup )
v_mov_b32 v18, v[vgprValuC+14]                     // store Cr
v_mul_f32 v[vgprValuC+14], s[sgprAlpha], v[vgprValuC+14] // *= alpha ( Cr = Ar * Cr)
_v_mac_f32 v[vgprValuC+14], -s[sgprAlpha+1], v[vgprValuC+15] // *= alpha ( Cr += -Ai * Ci )
v_mul_f32 v[vgprValuC+15], s[sgprAlpha], v[vgprValuC+15] // *= alpha ( Ci = Ar * Ci)
_v_mac_f32 v[vgprValuC+15], s[sgprAlpha+1], v18    // *= alpha ( Ci += Ai * Cr_backup )
	;; [unrolled: 5-line block ×3, first 2 shown]

/* apply mask, calc new C and issue writes */
_buffer_store_b64 v[8:9], v6, s[sgprSrdD:sgprSrdD+3], 0, offen, offset:0,  nt // store D
_buffer_store_b64 v[10:11], v7, s[sgprSrdD:sgprSrdD+3], 0, offen, offset:0,  nt // store D
	;; [unrolled: 1-line block ×4, first 2 shown]
s_nop 0                                            // 1 wait state required when next inst writes vgprs held by previous dwordx4 store inst
/* optSingleColVgpr=0 optSharedColVgpr=0 optSGPRUsage=BufferLoad_Edge_Mask optSrdIncForRow=0 */
s_sleep 3 // optimization: sync and wait
s_barrier

/******************************************/
/* Global Write Alpha Edge Batch #4 (d1,d0,vc1,vc0) = */
/*    (1,0,0,0:vw1); (1,0,0,1:vw1); (1,1,0,0:vw1); (1,1,0,1:vw1) */
/******************************************/

/* calc coords, apply mask, and issue loads (if necessary) */
/* (d1,vc1,d0,vc0)=(1,0,0,0) */
_v_add_co_u32 v1, vcc, v1, 13                      // coord1.1: coord1Vgpr += d1*sg1*VW + vc1

/* Fix for UseInitialStridesCD, emitAddressSetupCode */
s_mul_i32 s56, s[sgprStrideC1J], 13                // scale stride
_v_add_u32 v2, v2, s56                             // ROWINC- Move cinRowPtr to next row
s_mul_i32 s56, s[sgprStrideD1J], 13                // scale stride
_v_add_u32 v3, v3, s56                             // Move coutRowPtr to next row
v_cmp_lt_u32 s[56:57], v0, s[sgprSizeI]            // coord0 < size0
v_cmp_lt_u32 s[60:61], v1, s[sgprSizeJ]            // coord1 < size1
s_and_b64 s[60:61], s[56:57], s[60:61]             // in0 && in1
_v_add_lshl_u32 v6, v3, v0, 0x3                    // scaleToBpe: accumulate d0 lower and *= bpe into Cin addr
v_cndmask_b32 v6, -1, v6, s[60:61]                 // LDD clip if OOB. offset
/* (d1,vc1,d0,vc0)=(1,0,0,1) */
_v_add_co_u32 v4, vcc, v0, 1                       // coord0.1: coord0 += d0*sg0*VW + vc0
v_cmp_lt_u32 s[56:57], v4, s[sgprSizeI]            // coord0 < size0
v_cmp_lt_u32 s[60:61], v1, s[sgprSizeJ]            // coord1 < size1
s_and_b64 s[60:61], s[56:57], s[60:61]             // in0 && in1
_v_add_lshl_u32 v7, v3, v4, 0x3                    // scaleToBpe: accumulate d0 lower and *= bpe into Cin addr
v_cndmask_b32 v7, -1, v7, s[60:61]                 // LDD clip if OOB. offset
/* (d1,vc1,d0,vc0)=(1,0,1,0) */
s_mov_b32 s56, 128                                 // coordOffset0 d0=1 vc0=0
_v_add_co_u32 v4, vcc, v0, s56                     // coord0.2: coord0 += d0*sg0*VW + vc0
v_cmp_lt_u32 s[56:57], v4, s[sgprSizeI]            // coord0 < size0
v_cmp_lt_u32 s[60:61], v1, s[sgprSizeJ]            // coord1 < size1
s_and_b64 s[60:61], s[56:57], s[60:61]             // in0 && in1
_v_add_lshl_u32 v12, v3, v4, 0x3                   // scaleToBpe: accumulate d0 lower and *= bpe into Cin addr
v_cndmask_b32 v12, -1, v12, s[60:61]               // LDD clip if OOB. offset
/* (d1,vc1,d0,vc0)=(1,0,1,1) */
s_mov_b32 s56, 129                                 // coordOffset0 d0=1 vc0=1
_v_add_co_u32 v4, vcc, v0, s56                     // coord0.2: coord0 += d0*sg0*VW + vc0
v_cmp_lt_u32 s[56:57], v4, s[sgprSizeI]            // coord0 < size0
v_cmp_lt_u32 s[60:61], v1, s[sgprSizeJ]            // coord1 < size1
s_and_b64 s[60:61], s[56:57], s[60:61]             // in0 && in1
_v_add_lshl_u32 v13, v3, v4, 0x3                   // scaleToBpe: accumulate d0 lower and *= bpe into Cin addr
v_cndmask_b32 v13, -1, v13, s[60:61]               // LDD clip if OOB. offset
v_accvgpr_read_b32 v[vgprValuC+8], acc16 // copy acc to vreg[32]
v_accvgpr_read_b32 v[vgprValuC+9], acc128 // copy acc to vreg[33]
v_accvgpr_read_b32 v[vgprValuC+10], acc20 // copy acc to vreg[34]
v_accvgpr_read_b32 v[vgprValuC+11], acc132 // copy acc to vreg[35]
v_accvgpr_read_b32 v[vgprValuC+14], acc24 // copy acc to vreg[36]
v_accvgpr_read_b32 v[vgprValuC+15], acc136 // copy acc to vreg[37]
v_accvgpr_read_b32 v[vgprValuC+16], acc28 // copy acc to vreg[38]
v_accvgpr_read_b32 v[vgprValuC+17], acc140 // copy acc to vreg[39]
s_nop 1                                            // 2 wait states required before reading vgpr

/* rC *= alpha batchElements=[(1, 0, 0, 0), (1, 0, 0, 1), (1, 1, 0, 0), (1, 1, 0, 1)] */
v_mov_b32 v18, v[vgprValuC+8]                      // store Cr
v_mul_f32 v[vgprValuC+8], s[sgprAlpha], v[vgprValuC+8] // *= alpha ( Cr = Ar * Cr)
_v_mac_f32 v[vgprValuC+8], -s[sgprAlpha+1], v[vgprValuC+9] // *= alpha ( Cr += -Ai * Ci )
v_mul_f32 v[vgprValuC+9], s[sgprAlpha], v[vgprValuC+9] // *= alpha ( Ci = Ar * Ci)
_v_mac_f32 v[vgprValuC+9], s[sgprAlpha+1], v18     // *= alpha ( Ci += Ai * Cr_backup )
v_mov_b32 v18, v[vgprValuC+10]                     // store Cr
v_mul_f32 v[vgprValuC+10], s[sgprAlpha], v[vgprValuC+10] // *= alpha ( Cr = Ar * Cr)
_v_mac_f32 v[vgprValuC+10], -s[sgprAlpha+1], v[vgprValuC+11] // *= alpha ( Cr += -Ai * Ci )
v_mul_f32 v[vgprValuC+11], s[sgprAlpha], v[vgprValuC+11] // *= alpha ( Ci = Ar * Ci)
_v_mac_f32 v[vgprValuC+11], s[sgprAlpha+1], v18    // *= alpha ( Ci += Ai * Cr_backup )
v_mov_b32 v18, v[vgprValuC+14]                     // store Cr
v_mul_f32 v[vgprValuC+14], s[sgprAlpha], v[vgprValuC+14] // *= alpha ( Cr = Ar * Cr)
_v_mac_f32 v[vgprValuC+14], -s[sgprAlpha+1], v[vgprValuC+15] // *= alpha ( Cr += -Ai * Ci )
v_mul_f32 v[vgprValuC+15], s[sgprAlpha], v[vgprValuC+15] // *= alpha ( Ci = Ar * Ci)
_v_mac_f32 v[vgprValuC+15], s[sgprAlpha+1], v18    // *= alpha ( Ci += Ai * Cr_backup )
	;; [unrolled: 5-line block ×3, first 2 shown]

/* apply mask, calc new C and issue writes */
_buffer_store_b64 v[8:9], v6, s[sgprSrdD:sgprSrdD+3], 0, offen, offset:0,  nt // store D
_buffer_store_b64 v[10:11], v7, s[sgprSrdD:sgprSrdD+3], 0, offen, offset:0,  nt // store D
	;; [unrolled: 1-line block ×4, first 2 shown]
s_nop 0                                            // 1 wait state required when next inst writes vgprs held by previous dwordx4 store inst
/* optSingleColVgpr=0 optSharedColVgpr=0 optSGPRUsage=BufferLoad_Edge_Mask optSrdIncForRow=0 */
s_sleep 3 // optimization: sync and wait
s_barrier

/******************************************/
/* Global Write Alpha Edge Batch #5 (d1,d0,vc1,vc0) = */
/*    (1,0,1,0:vw1); (1,0,1,1:vw1); (1,1,1,0:vw1); (1,1,1,1:vw1) */
/******************************************/

/* calc coords, apply mask, and issue loads (if necessary) */
/* (d1,vc1,d0,vc0)=(1,1,0,0) */
_v_add_co_u32 v1, vcc, v1, 1                       // coord1.1: coord1Vgpr += d1*sg1*VW + vc1

/* Fix for UseInitialStridesCD, emitAddressSetupCode */
_v_add_u32 v2, v2, s[sgprStrideC1J]                // ROWINC- Move cinRowPtr to next row
_v_add_u32 v3, v3, s[sgprStrideD1J]                // Move coutRowPtr to next row
v_cmp_lt_u32 s[56:57], v0, s[sgprSizeI]            // coord0 < size0
v_cmp_lt_u32 s[60:61], v1, s[sgprSizeJ]            // coord1 < size1
s_and_b64 s[60:61], s[56:57], s[60:61]             // in0 && in1
_v_add_lshl_u32 v6, v3, v0, 0x3                    // scaleToBpe: accumulate d0 lower and *= bpe into Cin addr
v_cndmask_b32 v6, -1, v6, s[60:61]                 // LDD clip if OOB. offset
/* (d1,vc1,d0,vc0)=(1,1,0,1) */
_v_add_co_u32 v4, vcc, v0, 1                       // coord0.1: coord0 += d0*sg0*VW + vc0
v_cmp_lt_u32 s[56:57], v4, s[sgprSizeI]            // coord0 < size0
v_cmp_lt_u32 s[60:61], v1, s[sgprSizeJ]            // coord1 < size1
s_and_b64 s[60:61], s[56:57], s[60:61]             // in0 && in1
_v_add_lshl_u32 v7, v3, v4, 0x3                    // scaleToBpe: accumulate d0 lower and *= bpe into Cin addr
v_cndmask_b32 v7, -1, v7, s[60:61]                 // LDD clip if OOB. offset
/* (d1,vc1,d0,vc0)=(1,1,1,0) */
s_mov_b32 s56, 128                                 // coordOffset0 d0=1 vc0=0
_v_add_co_u32 v4, vcc, v0, s56                     // coord0.2: coord0 += d0*sg0*VW + vc0
v_cmp_lt_u32 s[56:57], v4, s[sgprSizeI]            // coord0 < size0
v_cmp_lt_u32 s[60:61], v1, s[sgprSizeJ]            // coord1 < size1
s_and_b64 s[60:61], s[56:57], s[60:61]             // in0 && in1
_v_add_lshl_u32 v12, v3, v4, 0x3                   // scaleToBpe: accumulate d0 lower and *= bpe into Cin addr
v_cndmask_b32 v12, -1, v12, s[60:61]               // LDD clip if OOB. offset
/* (d1,vc1,d0,vc0)=(1,1,1,1) */
s_mov_b32 s56, 129                                 // coordOffset0 d0=1 vc0=1
_v_add_co_u32 v4, vcc, v0, s56                     // coord0.2: coord0 += d0*sg0*VW + vc0
v_cmp_lt_u32 s[56:57], v4, s[sgprSizeI]            // coord0 < size0
v_cmp_lt_u32 s[60:61], v1, s[sgprSizeJ]            // coord1 < size1
s_and_b64 s[60:61], s[56:57], s[60:61]             // in0 && in1
_v_add_lshl_u32 v13, v3, v4, 0x3                   // scaleToBpe: accumulate d0 lower and *= bpe into Cin addr
v_cndmask_b32 v13, -1, v13, s[60:61]               // LDD clip if OOB. offset
v_accvgpr_read_b32 v[vgprValuC+8], acc17 // copy acc to vreg[40]
v_accvgpr_read_b32 v[vgprValuC+9], acc129 // copy acc to vreg[41]
v_accvgpr_read_b32 v[vgprValuC+10], acc21 // copy acc to vreg[42]
v_accvgpr_read_b32 v[vgprValuC+11], acc133 // copy acc to vreg[43]
v_accvgpr_read_b32 v[vgprValuC+14], acc25 // copy acc to vreg[44]
v_accvgpr_read_b32 v[vgprValuC+15], acc137 // copy acc to vreg[45]
v_accvgpr_read_b32 v[vgprValuC+16], acc29 // copy acc to vreg[46]
v_accvgpr_read_b32 v[vgprValuC+17], acc141 // copy acc to vreg[47]
s_nop 1                                            // 2 wait states required before reading vgpr

/* rC *= alpha batchElements=[(1, 0, 1, 0), (1, 0, 1, 1), (1, 1, 1, 0), (1, 1, 1, 1)] */
v_mov_b32 v18, v[vgprValuC+8]                      // store Cr
v_mul_f32 v[vgprValuC+8], s[sgprAlpha], v[vgprValuC+8] // *= alpha ( Cr = Ar * Cr)
_v_mac_f32 v[vgprValuC+8], -s[sgprAlpha+1], v[vgprValuC+9] // *= alpha ( Cr += -Ai * Ci )
v_mul_f32 v[vgprValuC+9], s[sgprAlpha], v[vgprValuC+9] // *= alpha ( Ci = Ar * Ci)
_v_mac_f32 v[vgprValuC+9], s[sgprAlpha+1], v18     // *= alpha ( Ci += Ai * Cr_backup )
v_mov_b32 v18, v[vgprValuC+10]                     // store Cr
v_mul_f32 v[vgprValuC+10], s[sgprAlpha], v[vgprValuC+10] // *= alpha ( Cr = Ar * Cr)
_v_mac_f32 v[vgprValuC+10], -s[sgprAlpha+1], v[vgprValuC+11] // *= alpha ( Cr += -Ai * Ci )
v_mul_f32 v[vgprValuC+11], s[sgprAlpha], v[vgprValuC+11] // *= alpha ( Ci = Ar * Ci)
_v_mac_f32 v[vgprValuC+11], s[sgprAlpha+1], v18    // *= alpha ( Ci += Ai * Cr_backup )
v_mov_b32 v18, v[vgprValuC+14]                     // store Cr
v_mul_f32 v[vgprValuC+14], s[sgprAlpha], v[vgprValuC+14] // *= alpha ( Cr = Ar * Cr)
_v_mac_f32 v[vgprValuC+14], -s[sgprAlpha+1], v[vgprValuC+15] // *= alpha ( Cr += -Ai * Ci )
v_mul_f32 v[vgprValuC+15], s[sgprAlpha], v[vgprValuC+15] // *= alpha ( Ci = Ar * Ci)
_v_mac_f32 v[vgprValuC+15], s[sgprAlpha+1], v18    // *= alpha ( Ci += Ai * Cr_backup )
	;; [unrolled: 5-line block ×3, first 2 shown]

/* apply mask, calc new C and issue writes */
_buffer_store_b64 v[8:9], v6, s[sgprSrdD:sgprSrdD+3], 0, offen, offset:0,  nt // store D
_buffer_store_b64 v[10:11], v7, s[sgprSrdD:sgprSrdD+3], 0, offen, offset:0,  nt // store D
	;; [unrolled: 1-line block ×4, first 2 shown]
s_nop 0                                            // 1 wait state required when next inst writes vgprs held by previous dwordx4 store inst
/* optSingleColVgpr=0 optSharedColVgpr=0 optSGPRUsage=BufferLoad_Edge_Mask optSrdIncForRow=0 */
s_sleep 3 // optimization: sync and wait
s_barrier

/******************************************/
/* Global Write Alpha Edge Batch #6 (d1,d0,vc1,vc0) = */
/*    (1,0,2,0:vw1); (1,0,2,1:vw1); (1,1,2,0:vw1); (1,1,2,1:vw1) */
/******************************************/

/* calc coords, apply mask, and issue loads (if necessary) */
/* (d1,vc1,d0,vc0)=(1,2,0,0) */
_v_add_co_u32 v1, vcc, v1, 1                       // coord1.1: coord1Vgpr += d1*sg1*VW + vc1

/* Fix for UseInitialStridesCD, emitAddressSetupCode */
_v_add_u32 v2, v2, s[sgprStrideC1J]                // ROWINC- Move cinRowPtr to next row
_v_add_u32 v3, v3, s[sgprStrideD1J]                // Move coutRowPtr to next row
v_cmp_lt_u32 s[56:57], v0, s[sgprSizeI]            // coord0 < size0
v_cmp_lt_u32 s[60:61], v1, s[sgprSizeJ]            // coord1 < size1
s_and_b64 s[60:61], s[56:57], s[60:61]             // in0 && in1
_v_add_lshl_u32 v6, v3, v0, 0x3                    // scaleToBpe: accumulate d0 lower and *= bpe into Cin addr
v_cndmask_b32 v6, -1, v6, s[60:61]                 // LDD clip if OOB. offset
/* (d1,vc1,d0,vc0)=(1,2,0,1) */
_v_add_co_u32 v4, vcc, v0, 1                       // coord0.1: coord0 += d0*sg0*VW + vc0
v_cmp_lt_u32 s[56:57], v4, s[sgprSizeI]            // coord0 < size0
v_cmp_lt_u32 s[60:61], v1, s[sgprSizeJ]            // coord1 < size1
s_and_b64 s[60:61], s[56:57], s[60:61]             // in0 && in1
_v_add_lshl_u32 v7, v3, v4, 0x3                    // scaleToBpe: accumulate d0 lower and *= bpe into Cin addr
v_cndmask_b32 v7, -1, v7, s[60:61]                 // LDD clip if OOB. offset
/* (d1,vc1,d0,vc0)=(1,2,1,0) */
s_mov_b32 s56, 128                                 // coordOffset0 d0=1 vc0=0
_v_add_co_u32 v4, vcc, v0, s56                     // coord0.2: coord0 += d0*sg0*VW + vc0
v_cmp_lt_u32 s[56:57], v4, s[sgprSizeI]            // coord0 < size0
v_cmp_lt_u32 s[60:61], v1, s[sgprSizeJ]            // coord1 < size1
s_and_b64 s[60:61], s[56:57], s[60:61]             // in0 && in1
_v_add_lshl_u32 v12, v3, v4, 0x3                   // scaleToBpe: accumulate d0 lower and *= bpe into Cin addr
v_cndmask_b32 v12, -1, v12, s[60:61]               // LDD clip if OOB. offset
/* (d1,vc1,d0,vc0)=(1,2,1,1) */
s_mov_b32 s56, 129                                 // coordOffset0 d0=1 vc0=1
_v_add_co_u32 v4, vcc, v0, s56                     // coord0.2: coord0 += d0*sg0*VW + vc0
v_cmp_lt_u32 s[56:57], v4, s[sgprSizeI]            // coord0 < size0
v_cmp_lt_u32 s[60:61], v1, s[sgprSizeJ]            // coord1 < size1
s_and_b64 s[60:61], s[56:57], s[60:61]             // in0 && in1
_v_add_lshl_u32 v13, v3, v4, 0x3                   // scaleToBpe: accumulate d0 lower and *= bpe into Cin addr
v_cndmask_b32 v13, -1, v13, s[60:61]               // LDD clip if OOB. offset
v_accvgpr_read_b32 v[vgprValuC+8], acc18 // copy acc to vreg[48]
v_accvgpr_read_b32 v[vgprValuC+9], acc130 // copy acc to vreg[49]
v_accvgpr_read_b32 v[vgprValuC+10], acc22 // copy acc to vreg[50]
v_accvgpr_read_b32 v[vgprValuC+11], acc134 // copy acc to vreg[51]
v_accvgpr_read_b32 v[vgprValuC+14], acc26 // copy acc to vreg[52]
v_accvgpr_read_b32 v[vgprValuC+15], acc138 // copy acc to vreg[53]
v_accvgpr_read_b32 v[vgprValuC+16], acc30 // copy acc to vreg[54]
v_accvgpr_read_b32 v[vgprValuC+17], acc142 // copy acc to vreg[55]
s_nop 1                                            // 2 wait states required before reading vgpr

/* rC *= alpha batchElements=[(1, 0, 2, 0), (1, 0, 2, 1), (1, 1, 2, 0), (1, 1, 2, 1)] */
v_mov_b32 v18, v[vgprValuC+8]                      // store Cr
v_mul_f32 v[vgprValuC+8], s[sgprAlpha], v[vgprValuC+8] // *= alpha ( Cr = Ar * Cr)
_v_mac_f32 v[vgprValuC+8], -s[sgprAlpha+1], v[vgprValuC+9] // *= alpha ( Cr += -Ai * Ci )
v_mul_f32 v[vgprValuC+9], s[sgprAlpha], v[vgprValuC+9] // *= alpha ( Ci = Ar * Ci)
_v_mac_f32 v[vgprValuC+9], s[sgprAlpha+1], v18     // *= alpha ( Ci += Ai * Cr_backup )
v_mov_b32 v18, v[vgprValuC+10]                     // store Cr
v_mul_f32 v[vgprValuC+10], s[sgprAlpha], v[vgprValuC+10] // *= alpha ( Cr = Ar * Cr)
_v_mac_f32 v[vgprValuC+10], -s[sgprAlpha+1], v[vgprValuC+11] // *= alpha ( Cr += -Ai * Ci )
v_mul_f32 v[vgprValuC+11], s[sgprAlpha], v[vgprValuC+11] // *= alpha ( Ci = Ar * Ci)
_v_mac_f32 v[vgprValuC+11], s[sgprAlpha+1], v18    // *= alpha ( Ci += Ai * Cr_backup )
v_mov_b32 v18, v[vgprValuC+14]                     // store Cr
v_mul_f32 v[vgprValuC+14], s[sgprAlpha], v[vgprValuC+14] // *= alpha ( Cr = Ar * Cr)
_v_mac_f32 v[vgprValuC+14], -s[sgprAlpha+1], v[vgprValuC+15] // *= alpha ( Cr += -Ai * Ci )
v_mul_f32 v[vgprValuC+15], s[sgprAlpha], v[vgprValuC+15] // *= alpha ( Ci = Ar * Ci)
_v_mac_f32 v[vgprValuC+15], s[sgprAlpha+1], v18    // *= alpha ( Ci += Ai * Cr_backup )
	;; [unrolled: 5-line block ×3, first 2 shown]

/* apply mask, calc new C and issue writes */
_buffer_store_b64 v[8:9], v6, s[sgprSrdD:sgprSrdD+3], 0, offen, offset:0,  nt // store D
_buffer_store_b64 v[10:11], v7, s[sgprSrdD:sgprSrdD+3], 0, offen, offset:0,  nt // store D
	;; [unrolled: 1-line block ×4, first 2 shown]
s_nop 0                                            // 1 wait state required when next inst writes vgprs held by previous dwordx4 store inst
/* optSingleColVgpr=0 optSharedColVgpr=0 optSGPRUsage=BufferLoad_Edge_Mask optSrdIncForRow=0 */
s_sleep 3 // optimization: sync and wait
s_barrier

/******************************************/
/* Global Write Alpha Edge Batch #7 (d1,d0,vc1,vc0) = */
/*    (1,0,3,0:vw1); (1,0,3,1:vw1); (1,1,3,0:vw1); (1,1,3,1:vw1) */
/******************************************/

/* calc coords, apply mask, and issue loads (if necessary) */
/* (d1,vc1,d0,vc0)=(1,3,0,0) */
_v_add_co_u32 v1, vcc, v1, 1                       // coord1.1: coord1Vgpr += d1*sg1*VW + vc1

/* Fix for UseInitialStridesCD, emitAddressSetupCode */
_v_add_u32 v2, v2, s[sgprStrideC1J]                // ROWINC- Move cinRowPtr to next row
_v_add_u32 v3, v3, s[sgprStrideD1J]                // Move coutRowPtr to next row
v_cmp_lt_u32 s[56:57], v0, s[sgprSizeI]            // coord0 < size0
v_cmp_lt_u32 s[60:61], v1, s[sgprSizeJ]            // coord1 < size1
s_and_b64 s[60:61], s[56:57], s[60:61]             // in0 && in1
_v_add_lshl_u32 v6, v3, v0, 0x3                    // scaleToBpe: accumulate d0 lower and *= bpe into Cin addr
v_cndmask_b32 v6, -1, v6, s[60:61]                 // LDD clip if OOB. offset
/* (d1,vc1,d0,vc0)=(1,3,0,1) */
_v_add_co_u32 v4, vcc, v0, 1                       // coord0.1: coord0 += d0*sg0*VW + vc0
v_cmp_lt_u32 s[56:57], v4, s[sgprSizeI]            // coord0 < size0
v_cmp_lt_u32 s[60:61], v1, s[sgprSizeJ]            // coord1 < size1
s_and_b64 s[60:61], s[56:57], s[60:61]             // in0 && in1
_v_add_lshl_u32 v7, v3, v4, 0x3                    // scaleToBpe: accumulate d0 lower and *= bpe into Cin addr
v_cndmask_b32 v7, -1, v7, s[60:61]                 // LDD clip if OOB. offset
/* (d1,vc1,d0,vc0)=(1,3,1,0) */
s_mov_b32 s56, 128                                 // coordOffset0 d0=1 vc0=0
_v_add_co_u32 v4, vcc, v0, s56                     // coord0.2: coord0 += d0*sg0*VW + vc0
v_cmp_lt_u32 s[56:57], v4, s[sgprSizeI]            // coord0 < size0
v_cmp_lt_u32 s[60:61], v1, s[sgprSizeJ]            // coord1 < size1
s_and_b64 s[60:61], s[56:57], s[60:61]             // in0 && in1
_v_add_lshl_u32 v12, v3, v4, 0x3                   // scaleToBpe: accumulate d0 lower and *= bpe into Cin addr
v_cndmask_b32 v12, -1, v12, s[60:61]               // LDD clip if OOB. offset
/* (d1,vc1,d0,vc0)=(1,3,1,1) */
s_mov_b32 s56, 129                                 // coordOffset0 d0=1 vc0=1
_v_add_co_u32 v4, vcc, v0, s56                     // coord0.2: coord0 += d0*sg0*VW + vc0
v_cmp_lt_u32 s[56:57], v4, s[sgprSizeI]            // coord0 < size0
v_cmp_lt_u32 s[60:61], v1, s[sgprSizeJ]            // coord1 < size1
s_and_b64 s[60:61], s[56:57], s[60:61]             // in0 && in1
_v_add_lshl_u32 v13, v3, v4, 0x3                   // scaleToBpe: accumulate d0 lower and *= bpe into Cin addr
v_cndmask_b32 v13, -1, v13, s[60:61]               // LDD clip if OOB. offset
v_accvgpr_read_b32 v[vgprValuC+8], acc19 // copy acc to vreg[56]
v_accvgpr_read_b32 v[vgprValuC+9], acc131 // copy acc to vreg[57]
v_accvgpr_read_b32 v[vgprValuC+10], acc23 // copy acc to vreg[58]
v_accvgpr_read_b32 v[vgprValuC+11], acc135 // copy acc to vreg[59]
v_accvgpr_read_b32 v[vgprValuC+14], acc27 // copy acc to vreg[60]
v_accvgpr_read_b32 v[vgprValuC+15], acc139 // copy acc to vreg[61]
v_accvgpr_read_b32 v[vgprValuC+16], acc31 // copy acc to vreg[62]
v_accvgpr_read_b32 v[vgprValuC+17], acc143 // copy acc to vreg[63]
s_nop 1                                            // 2 wait states required before reading vgpr

/* rC *= alpha batchElements=[(1, 0, 3, 0), (1, 0, 3, 1), (1, 1, 3, 0), (1, 1, 3, 1)] */
v_mov_b32 v18, v[vgprValuC+8]                      // store Cr
v_mul_f32 v[vgprValuC+8], s[sgprAlpha], v[vgprValuC+8] // *= alpha ( Cr = Ar * Cr)
_v_mac_f32 v[vgprValuC+8], -s[sgprAlpha+1], v[vgprValuC+9] // *= alpha ( Cr += -Ai * Ci )
v_mul_f32 v[vgprValuC+9], s[sgprAlpha], v[vgprValuC+9] // *= alpha ( Ci = Ar * Ci)
_v_mac_f32 v[vgprValuC+9], s[sgprAlpha+1], v18     // *= alpha ( Ci += Ai * Cr_backup )
v_mov_b32 v18, v[vgprValuC+10]                     // store Cr
v_mul_f32 v[vgprValuC+10], s[sgprAlpha], v[vgprValuC+10] // *= alpha ( Cr = Ar * Cr)
_v_mac_f32 v[vgprValuC+10], -s[sgprAlpha+1], v[vgprValuC+11] // *= alpha ( Cr += -Ai * Ci )
v_mul_f32 v[vgprValuC+11], s[sgprAlpha], v[vgprValuC+11] // *= alpha ( Ci = Ar * Ci)
_v_mac_f32 v[vgprValuC+11], s[sgprAlpha+1], v18    // *= alpha ( Ci += Ai * Cr_backup )
v_mov_b32 v18, v[vgprValuC+14]                     // store Cr
v_mul_f32 v[vgprValuC+14], s[sgprAlpha], v[vgprValuC+14] // *= alpha ( Cr = Ar * Cr)
_v_mac_f32 v[vgprValuC+14], -s[sgprAlpha+1], v[vgprValuC+15] // *= alpha ( Cr += -Ai * Ci )
v_mul_f32 v[vgprValuC+15], s[sgprAlpha], v[vgprValuC+15] // *= alpha ( Ci = Ar * Ci)
_v_mac_f32 v[vgprValuC+15], s[sgprAlpha+1], v18    // *= alpha ( Ci += Ai * Cr_backup )
	;; [unrolled: 5-line block ×3, first 2 shown]

/* apply mask, calc new C and issue writes */
_buffer_store_b64 v[8:9], v6, s[sgprSrdD:sgprSrdD+3], 0, offen, offset:0,  nt // store D
_buffer_store_b64 v[10:11], v7, s[sgprSrdD:sgprSrdD+3], 0, offen, offset:0,  nt // store D
_buffer_store_b64 v[14:15], v12, s[sgprSrdD:sgprSrdD+3], 0, offen, offset:0,  nt // store D
_buffer_store_b64 v[16:17], v13, s[sgprSrdD:sgprSrdD+3], 0, offen, offset:0,  nt // store D
s_nop 0                                            // 1 wait state required when next inst writes vgprs held by previous dwordx4 store inst
/* optSingleColVgpr=0 optSharedColVgpr=0 optSGPRUsage=BufferLoad_Edge_Mask optSrdIncForRow=0 */
s_sleep 3 // optimization: sync and wait
s_barrier

/******************************************/
/* Global Write Alpha Edge Batch #8 (d1,d0,vc1,vc0) = */
/*    (2,0,0,0:vw1); (2,0,0,1:vw1); (2,1,0,0:vw1); (2,1,0,1:vw1) */
/******************************************/

/* calc coords, apply mask, and issue loads (if necessary) */
/* (d1,vc1,d0,vc0)=(2,0,0,0) */
_v_add_co_u32 v1, vcc, v1, 13                      // coord1.1: coord1Vgpr += d1*sg1*VW + vc1

/* Fix for UseInitialStridesCD, emitAddressSetupCode */
s_mul_i32 s56, s[sgprStrideC1J], 13                // scale stride
_v_add_u32 v2, v2, s56                             // ROWINC- Move cinRowPtr to next row
s_mul_i32 s56, s[sgprStrideD1J], 13                // scale stride
_v_add_u32 v3, v3, s56                             // Move coutRowPtr to next row
v_cmp_lt_u32 s[56:57], v0, s[sgprSizeI]            // coord0 < size0
v_cmp_lt_u32 s[60:61], v1, s[sgprSizeJ]            // coord1 < size1
s_and_b64 s[60:61], s[56:57], s[60:61]             // in0 && in1
_v_add_lshl_u32 v6, v3, v0, 0x3                    // scaleToBpe: accumulate d0 lower and *= bpe into Cin addr
v_cndmask_b32 v6, -1, v6, s[60:61]                 // LDD clip if OOB. offset
/* (d1,vc1,d0,vc0)=(2,0,0,1) */
_v_add_co_u32 v4, vcc, v0, 1                       // coord0.1: coord0 += d0*sg0*VW + vc0
v_cmp_lt_u32 s[56:57], v4, s[sgprSizeI]            // coord0 < size0
v_cmp_lt_u32 s[60:61], v1, s[sgprSizeJ]            // coord1 < size1
s_and_b64 s[60:61], s[56:57], s[60:61]             // in0 && in1
_v_add_lshl_u32 v7, v3, v4, 0x3                    // scaleToBpe: accumulate d0 lower and *= bpe into Cin addr
v_cndmask_b32 v7, -1, v7, s[60:61]                 // LDD clip if OOB. offset
/* (d1,vc1,d0,vc0)=(2,0,1,0) */
s_mov_b32 s56, 128                                 // coordOffset0 d0=1 vc0=0
_v_add_co_u32 v4, vcc, v0, s56                     // coord0.2: coord0 += d0*sg0*VW + vc0
v_cmp_lt_u32 s[56:57], v4, s[sgprSizeI]            // coord0 < size0
v_cmp_lt_u32 s[60:61], v1, s[sgprSizeJ]            // coord1 < size1
s_and_b64 s[60:61], s[56:57], s[60:61]             // in0 && in1
_v_add_lshl_u32 v12, v3, v4, 0x3                   // scaleToBpe: accumulate d0 lower and *= bpe into Cin addr
v_cndmask_b32 v12, -1, v12, s[60:61]               // LDD clip if OOB. offset
/* (d1,vc1,d0,vc0)=(2,0,1,1) */
s_mov_b32 s56, 129                                 // coordOffset0 d0=1 vc0=1
_v_add_co_u32 v4, vcc, v0, s56                     // coord0.2: coord0 += d0*sg0*VW + vc0
v_cmp_lt_u32 s[56:57], v4, s[sgprSizeI]            // coord0 < size0
v_cmp_lt_u32 s[60:61], v1, s[sgprSizeJ]            // coord1 < size1
s_and_b64 s[60:61], s[56:57], s[60:61]             // in0 && in1
_v_add_lshl_u32 v13, v3, v4, 0x3                   // scaleToBpe: accumulate d0 lower and *= bpe into Cin addr
v_cndmask_b32 v13, -1, v13, s[60:61]               // LDD clip if OOB. offset
v_accvgpr_read_b32 v[vgprValuC+8], acc32 // copy acc to vreg[64]
v_accvgpr_read_b32 v[vgprValuC+9], acc144 // copy acc to vreg[65]
v_accvgpr_read_b32 v[vgprValuC+10], acc36 // copy acc to vreg[66]
v_accvgpr_read_b32 v[vgprValuC+11], acc148 // copy acc to vreg[67]
v_accvgpr_read_b32 v[vgprValuC+14], acc40 // copy acc to vreg[68]
v_accvgpr_read_b32 v[vgprValuC+15], acc152 // copy acc to vreg[69]
v_accvgpr_read_b32 v[vgprValuC+16], acc44 // copy acc to vreg[70]
v_accvgpr_read_b32 v[vgprValuC+17], acc156 // copy acc to vreg[71]
s_nop 1                                            // 2 wait states required before reading vgpr

/* rC *= alpha batchElements=[(2, 0, 0, 0), (2, 0, 0, 1), (2, 1, 0, 0), (2, 1, 0, 1)] */
v_mov_b32 v18, v[vgprValuC+8]                      // store Cr
v_mul_f32 v[vgprValuC+8], s[sgprAlpha], v[vgprValuC+8] // *= alpha ( Cr = Ar * Cr)
_v_mac_f32 v[vgprValuC+8], -s[sgprAlpha+1], v[vgprValuC+9] // *= alpha ( Cr += -Ai * Ci )
v_mul_f32 v[vgprValuC+9], s[sgprAlpha], v[vgprValuC+9] // *= alpha ( Ci = Ar * Ci)
_v_mac_f32 v[vgprValuC+9], s[sgprAlpha+1], v18     // *= alpha ( Ci += Ai * Cr_backup )
v_mov_b32 v18, v[vgprValuC+10]                     // store Cr
v_mul_f32 v[vgprValuC+10], s[sgprAlpha], v[vgprValuC+10] // *= alpha ( Cr = Ar * Cr)
_v_mac_f32 v[vgprValuC+10], -s[sgprAlpha+1], v[vgprValuC+11] // *= alpha ( Cr += -Ai * Ci )
v_mul_f32 v[vgprValuC+11], s[sgprAlpha], v[vgprValuC+11] // *= alpha ( Ci = Ar * Ci)
_v_mac_f32 v[vgprValuC+11], s[sgprAlpha+1], v18    // *= alpha ( Ci += Ai * Cr_backup )
v_mov_b32 v18, v[vgprValuC+14]                     // store Cr
v_mul_f32 v[vgprValuC+14], s[sgprAlpha], v[vgprValuC+14] // *= alpha ( Cr = Ar * Cr)
_v_mac_f32 v[vgprValuC+14], -s[sgprAlpha+1], v[vgprValuC+15] // *= alpha ( Cr += -Ai * Ci )
v_mul_f32 v[vgprValuC+15], s[sgprAlpha], v[vgprValuC+15] // *= alpha ( Ci = Ar * Ci)
_v_mac_f32 v[vgprValuC+15], s[sgprAlpha+1], v18    // *= alpha ( Ci += Ai * Cr_backup )
	;; [unrolled: 5-line block ×3, first 2 shown]

/* apply mask, calc new C and issue writes */
_buffer_store_b64 v[8:9], v6, s[sgprSrdD:sgprSrdD+3], 0, offen, offset:0,  nt // store D
_buffer_store_b64 v[10:11], v7, s[sgprSrdD:sgprSrdD+3], 0, offen, offset:0,  nt // store D
	;; [unrolled: 1-line block ×4, first 2 shown]
s_nop 0                                            // 1 wait state required when next inst writes vgprs held by previous dwordx4 store inst
/* optSingleColVgpr=0 optSharedColVgpr=0 optSGPRUsage=BufferLoad_Edge_Mask optSrdIncForRow=0 */
s_sleep 3 // optimization: sync and wait
s_barrier

/******************************************/
/* Global Write Alpha Edge Batch #9 (d1,d0,vc1,vc0) = */
/*    (2,0,1,0:vw1); (2,0,1,1:vw1); (2,1,1,0:vw1); (2,1,1,1:vw1) */
/******************************************/

/* calc coords, apply mask, and issue loads (if necessary) */
/* (d1,vc1,d0,vc0)=(2,1,0,0) */
_v_add_co_u32 v1, vcc, v1, 1                       // coord1.1: coord1Vgpr += d1*sg1*VW + vc1

/* Fix for UseInitialStridesCD, emitAddressSetupCode */
_v_add_u32 v2, v2, s[sgprStrideC1J]                // ROWINC- Move cinRowPtr to next row
_v_add_u32 v3, v3, s[sgprStrideD1J]                // Move coutRowPtr to next row
v_cmp_lt_u32 s[56:57], v0, s[sgprSizeI]            // coord0 < size0
v_cmp_lt_u32 s[60:61], v1, s[sgprSizeJ]            // coord1 < size1
s_and_b64 s[60:61], s[56:57], s[60:61]             // in0 && in1
_v_add_lshl_u32 v6, v3, v0, 0x3                    // scaleToBpe: accumulate d0 lower and *= bpe into Cin addr
v_cndmask_b32 v6, -1, v6, s[60:61]                 // LDD clip if OOB. offset
/* (d1,vc1,d0,vc0)=(2,1,0,1) */
_v_add_co_u32 v4, vcc, v0, 1                       // coord0.1: coord0 += d0*sg0*VW + vc0
v_cmp_lt_u32 s[56:57], v4, s[sgprSizeI]            // coord0 < size0
v_cmp_lt_u32 s[60:61], v1, s[sgprSizeJ]            // coord1 < size1
s_and_b64 s[60:61], s[56:57], s[60:61]             // in0 && in1
_v_add_lshl_u32 v7, v3, v4, 0x3                    // scaleToBpe: accumulate d0 lower and *= bpe into Cin addr
v_cndmask_b32 v7, -1, v7, s[60:61]                 // LDD clip if OOB. offset
/* (d1,vc1,d0,vc0)=(2,1,1,0) */
s_mov_b32 s56, 128                                 // coordOffset0 d0=1 vc0=0
_v_add_co_u32 v4, vcc, v0, s56                     // coord0.2: coord0 += d0*sg0*VW + vc0
v_cmp_lt_u32 s[56:57], v4, s[sgprSizeI]            // coord0 < size0
v_cmp_lt_u32 s[60:61], v1, s[sgprSizeJ]            // coord1 < size1
s_and_b64 s[60:61], s[56:57], s[60:61]             // in0 && in1
_v_add_lshl_u32 v12, v3, v4, 0x3                   // scaleToBpe: accumulate d0 lower and *= bpe into Cin addr
v_cndmask_b32 v12, -1, v12, s[60:61]               // LDD clip if OOB. offset
/* (d1,vc1,d0,vc0)=(2,1,1,1) */
s_mov_b32 s56, 129                                 // coordOffset0 d0=1 vc0=1
_v_add_co_u32 v4, vcc, v0, s56                     // coord0.2: coord0 += d0*sg0*VW + vc0
v_cmp_lt_u32 s[56:57], v4, s[sgprSizeI]            // coord0 < size0
v_cmp_lt_u32 s[60:61], v1, s[sgprSizeJ]            // coord1 < size1
s_and_b64 s[60:61], s[56:57], s[60:61]             // in0 && in1
_v_add_lshl_u32 v13, v3, v4, 0x3                   // scaleToBpe: accumulate d0 lower and *= bpe into Cin addr
v_cndmask_b32 v13, -1, v13, s[60:61]               // LDD clip if OOB. offset
v_accvgpr_read_b32 v[vgprValuC+8], acc33 // copy acc to vreg[72]
v_accvgpr_read_b32 v[vgprValuC+9], acc145 // copy acc to vreg[73]
v_accvgpr_read_b32 v[vgprValuC+10], acc37 // copy acc to vreg[74]
v_accvgpr_read_b32 v[vgprValuC+11], acc149 // copy acc to vreg[75]
v_accvgpr_read_b32 v[vgprValuC+14], acc41 // copy acc to vreg[76]
v_accvgpr_read_b32 v[vgprValuC+15], acc153 // copy acc to vreg[77]
v_accvgpr_read_b32 v[vgprValuC+16], acc45 // copy acc to vreg[78]
v_accvgpr_read_b32 v[vgprValuC+17], acc157 // copy acc to vreg[79]
s_nop 1                                            // 2 wait states required before reading vgpr

/* rC *= alpha batchElements=[(2, 0, 1, 0), (2, 0, 1, 1), (2, 1, 1, 0), (2, 1, 1, 1)] */
v_mov_b32 v18, v[vgprValuC+8]                      // store Cr
v_mul_f32 v[vgprValuC+8], s[sgprAlpha], v[vgprValuC+8] // *= alpha ( Cr = Ar * Cr)
_v_mac_f32 v[vgprValuC+8], -s[sgprAlpha+1], v[vgprValuC+9] // *= alpha ( Cr += -Ai * Ci )
v_mul_f32 v[vgprValuC+9], s[sgprAlpha], v[vgprValuC+9] // *= alpha ( Ci = Ar * Ci)
_v_mac_f32 v[vgprValuC+9], s[sgprAlpha+1], v18     // *= alpha ( Ci += Ai * Cr_backup )
v_mov_b32 v18, v[vgprValuC+10]                     // store Cr
v_mul_f32 v[vgprValuC+10], s[sgprAlpha], v[vgprValuC+10] // *= alpha ( Cr = Ar * Cr)
_v_mac_f32 v[vgprValuC+10], -s[sgprAlpha+1], v[vgprValuC+11] // *= alpha ( Cr += -Ai * Ci )
v_mul_f32 v[vgprValuC+11], s[sgprAlpha], v[vgprValuC+11] // *= alpha ( Ci = Ar * Ci)
_v_mac_f32 v[vgprValuC+11], s[sgprAlpha+1], v18    // *= alpha ( Ci += Ai * Cr_backup )
v_mov_b32 v18, v[vgprValuC+14]                     // store Cr
v_mul_f32 v[vgprValuC+14], s[sgprAlpha], v[vgprValuC+14] // *= alpha ( Cr = Ar * Cr)
_v_mac_f32 v[vgprValuC+14], -s[sgprAlpha+1], v[vgprValuC+15] // *= alpha ( Cr += -Ai * Ci )
v_mul_f32 v[vgprValuC+15], s[sgprAlpha], v[vgprValuC+15] // *= alpha ( Ci = Ar * Ci)
_v_mac_f32 v[vgprValuC+15], s[sgprAlpha+1], v18    // *= alpha ( Ci += Ai * Cr_backup )
	;; [unrolled: 5-line block ×3, first 2 shown]

/* apply mask, calc new C and issue writes */
_buffer_store_b64 v[8:9], v6, s[sgprSrdD:sgprSrdD+3], 0, offen, offset:0,  nt // store D
_buffer_store_b64 v[10:11], v7, s[sgprSrdD:sgprSrdD+3], 0, offen, offset:0,  nt // store D
	;; [unrolled: 1-line block ×4, first 2 shown]
s_nop 0                                            // 1 wait state required when next inst writes vgprs held by previous dwordx4 store inst
/* optSingleColVgpr=0 optSharedColVgpr=0 optSGPRUsage=BufferLoad_Edge_Mask optSrdIncForRow=0 */
s_sleep 3 // optimization: sync and wait
s_barrier

/******************************************/
/* Global Write Alpha Edge Batch #10 (d1,d0,vc1,vc0) = */
/*    (2,0,2,0:vw1); (2,0,2,1:vw1); (2,1,2,0:vw1); (2,1,2,1:vw1) */
/******************************************/

/* calc coords, apply mask, and issue loads (if necessary) */
/* (d1,vc1,d0,vc0)=(2,2,0,0) */
_v_add_co_u32 v1, vcc, v1, 1                       // coord1.1: coord1Vgpr += d1*sg1*VW + vc1

/* Fix for UseInitialStridesCD, emitAddressSetupCode */
_v_add_u32 v2, v2, s[sgprStrideC1J]                // ROWINC- Move cinRowPtr to next row
_v_add_u32 v3, v3, s[sgprStrideD1J]                // Move coutRowPtr to next row
v_cmp_lt_u32 s[56:57], v0, s[sgprSizeI]            // coord0 < size0
v_cmp_lt_u32 s[60:61], v1, s[sgprSizeJ]            // coord1 < size1
s_and_b64 s[60:61], s[56:57], s[60:61]             // in0 && in1
_v_add_lshl_u32 v6, v3, v0, 0x3                    // scaleToBpe: accumulate d0 lower and *= bpe into Cin addr
v_cndmask_b32 v6, -1, v6, s[60:61]                 // LDD clip if OOB. offset
/* (d1,vc1,d0,vc0)=(2,2,0,1) */
_v_add_co_u32 v4, vcc, v0, 1                       // coord0.1: coord0 += d0*sg0*VW + vc0
v_cmp_lt_u32 s[56:57], v4, s[sgprSizeI]            // coord0 < size0
v_cmp_lt_u32 s[60:61], v1, s[sgprSizeJ]            // coord1 < size1
s_and_b64 s[60:61], s[56:57], s[60:61]             // in0 && in1
_v_add_lshl_u32 v7, v3, v4, 0x3                    // scaleToBpe: accumulate d0 lower and *= bpe into Cin addr
v_cndmask_b32 v7, -1, v7, s[60:61]                 // LDD clip if OOB. offset
/* (d1,vc1,d0,vc0)=(2,2,1,0) */
s_mov_b32 s56, 128                                 // coordOffset0 d0=1 vc0=0
_v_add_co_u32 v4, vcc, v0, s56                     // coord0.2: coord0 += d0*sg0*VW + vc0
v_cmp_lt_u32 s[56:57], v4, s[sgprSizeI]            // coord0 < size0
v_cmp_lt_u32 s[60:61], v1, s[sgprSizeJ]            // coord1 < size1
s_and_b64 s[60:61], s[56:57], s[60:61]             // in0 && in1
_v_add_lshl_u32 v12, v3, v4, 0x3                   // scaleToBpe: accumulate d0 lower and *= bpe into Cin addr
v_cndmask_b32 v12, -1, v12, s[60:61]               // LDD clip if OOB. offset
/* (d1,vc1,d0,vc0)=(2,2,1,1) */
s_mov_b32 s56, 129                                 // coordOffset0 d0=1 vc0=1
_v_add_co_u32 v4, vcc, v0, s56                     // coord0.2: coord0 += d0*sg0*VW + vc0
v_cmp_lt_u32 s[56:57], v4, s[sgprSizeI]            // coord0 < size0
v_cmp_lt_u32 s[60:61], v1, s[sgprSizeJ]            // coord1 < size1
s_and_b64 s[60:61], s[56:57], s[60:61]             // in0 && in1
_v_add_lshl_u32 v13, v3, v4, 0x3                   // scaleToBpe: accumulate d0 lower and *= bpe into Cin addr
v_cndmask_b32 v13, -1, v13, s[60:61]               // LDD clip if OOB. offset
v_accvgpr_read_b32 v[vgprValuC+8], acc34 // copy acc to vreg[80]
v_accvgpr_read_b32 v[vgprValuC+9], acc146 // copy acc to vreg[81]
v_accvgpr_read_b32 v[vgprValuC+10], acc38 // copy acc to vreg[82]
v_accvgpr_read_b32 v[vgprValuC+11], acc150 // copy acc to vreg[83]
v_accvgpr_read_b32 v[vgprValuC+14], acc42 // copy acc to vreg[84]
v_accvgpr_read_b32 v[vgprValuC+15], acc154 // copy acc to vreg[85]
v_accvgpr_read_b32 v[vgprValuC+16], acc46 // copy acc to vreg[86]
v_accvgpr_read_b32 v[vgprValuC+17], acc158 // copy acc to vreg[87]
s_nop 1                                            // 2 wait states required before reading vgpr

/* rC *= alpha batchElements=[(2, 0, 2, 0), (2, 0, 2, 1), (2, 1, 2, 0), (2, 1, 2, 1)] */
v_mov_b32 v18, v[vgprValuC+8]                      // store Cr
v_mul_f32 v[vgprValuC+8], s[sgprAlpha], v[vgprValuC+8] // *= alpha ( Cr = Ar * Cr)
_v_mac_f32 v[vgprValuC+8], -s[sgprAlpha+1], v[vgprValuC+9] // *= alpha ( Cr += -Ai * Ci )
v_mul_f32 v[vgprValuC+9], s[sgprAlpha], v[vgprValuC+9] // *= alpha ( Ci = Ar * Ci)
_v_mac_f32 v[vgprValuC+9], s[sgprAlpha+1], v18     // *= alpha ( Ci += Ai * Cr_backup )
v_mov_b32 v18, v[vgprValuC+10]                     // store Cr
v_mul_f32 v[vgprValuC+10], s[sgprAlpha], v[vgprValuC+10] // *= alpha ( Cr = Ar * Cr)
_v_mac_f32 v[vgprValuC+10], -s[sgprAlpha+1], v[vgprValuC+11] // *= alpha ( Cr += -Ai * Ci )
v_mul_f32 v[vgprValuC+11], s[sgprAlpha], v[vgprValuC+11] // *= alpha ( Ci = Ar * Ci)
_v_mac_f32 v[vgprValuC+11], s[sgprAlpha+1], v18    // *= alpha ( Ci += Ai * Cr_backup )
v_mov_b32 v18, v[vgprValuC+14]                     // store Cr
v_mul_f32 v[vgprValuC+14], s[sgprAlpha], v[vgprValuC+14] // *= alpha ( Cr = Ar * Cr)
_v_mac_f32 v[vgprValuC+14], -s[sgprAlpha+1], v[vgprValuC+15] // *= alpha ( Cr += -Ai * Ci )
v_mul_f32 v[vgprValuC+15], s[sgprAlpha], v[vgprValuC+15] // *= alpha ( Ci = Ar * Ci)
_v_mac_f32 v[vgprValuC+15], s[sgprAlpha+1], v18    // *= alpha ( Ci += Ai * Cr_backup )
	;; [unrolled: 5-line block ×3, first 2 shown]

/* apply mask, calc new C and issue writes */
_buffer_store_b64 v[8:9], v6, s[sgprSrdD:sgprSrdD+3], 0, offen, offset:0,  nt // store D
_buffer_store_b64 v[10:11], v7, s[sgprSrdD:sgprSrdD+3], 0, offen, offset:0,  nt // store D
	;; [unrolled: 1-line block ×4, first 2 shown]
s_nop 0                                            // 1 wait state required when next inst writes vgprs held by previous dwordx4 store inst
/* optSingleColVgpr=0 optSharedColVgpr=0 optSGPRUsage=BufferLoad_Edge_Mask optSrdIncForRow=0 */
s_sleep 3 // optimization: sync and wait
s_barrier

/******************************************/
/* Global Write Alpha Edge Batch #11 (d1,d0,vc1,vc0) = */
/*    (2,0,3,0:vw1); (2,0,3,1:vw1); (2,1,3,0:vw1); (2,1,3,1:vw1) */
/******************************************/

/* calc coords, apply mask, and issue loads (if necessary) */
/* (d1,vc1,d0,vc0)=(2,3,0,0) */
_v_add_co_u32 v1, vcc, v1, 1                       // coord1.1: coord1Vgpr += d1*sg1*VW + vc1

/* Fix for UseInitialStridesCD, emitAddressSetupCode */
_v_add_u32 v2, v2, s[sgprStrideC1J]                // ROWINC- Move cinRowPtr to next row
_v_add_u32 v3, v3, s[sgprStrideD1J]                // Move coutRowPtr to next row
v_cmp_lt_u32 s[56:57], v0, s[sgprSizeI]            // coord0 < size0
v_cmp_lt_u32 s[60:61], v1, s[sgprSizeJ]            // coord1 < size1
s_and_b64 s[60:61], s[56:57], s[60:61]             // in0 && in1
_v_add_lshl_u32 v6, v3, v0, 0x3                    // scaleToBpe: accumulate d0 lower and *= bpe into Cin addr
v_cndmask_b32 v6, -1, v6, s[60:61]                 // LDD clip if OOB. offset
/* (d1,vc1,d0,vc0)=(2,3,0,1) */
_v_add_co_u32 v4, vcc, v0, 1                       // coord0.1: coord0 += d0*sg0*VW + vc0
v_cmp_lt_u32 s[56:57], v4, s[sgprSizeI]            // coord0 < size0
v_cmp_lt_u32 s[60:61], v1, s[sgprSizeJ]            // coord1 < size1
s_and_b64 s[60:61], s[56:57], s[60:61]             // in0 && in1
_v_add_lshl_u32 v7, v3, v4, 0x3                    // scaleToBpe: accumulate d0 lower and *= bpe into Cin addr
v_cndmask_b32 v7, -1, v7, s[60:61]                 // LDD clip if OOB. offset
/* (d1,vc1,d0,vc0)=(2,3,1,0) */
s_mov_b32 s56, 128                                 // coordOffset0 d0=1 vc0=0
_v_add_co_u32 v4, vcc, v0, s56                     // coord0.2: coord0 += d0*sg0*VW + vc0
v_cmp_lt_u32 s[56:57], v4, s[sgprSizeI]            // coord0 < size0
v_cmp_lt_u32 s[60:61], v1, s[sgprSizeJ]            // coord1 < size1
s_and_b64 s[60:61], s[56:57], s[60:61]             // in0 && in1
_v_add_lshl_u32 v12, v3, v4, 0x3                   // scaleToBpe: accumulate d0 lower and *= bpe into Cin addr
v_cndmask_b32 v12, -1, v12, s[60:61]               // LDD clip if OOB. offset
/* (d1,vc1,d0,vc0)=(2,3,1,1) */
s_mov_b32 s56, 129                                 // coordOffset0 d0=1 vc0=1
_v_add_co_u32 v4, vcc, v0, s56                     // coord0.2: coord0 += d0*sg0*VW + vc0
v_cmp_lt_u32 s[56:57], v4, s[sgprSizeI]            // coord0 < size0
v_cmp_lt_u32 s[60:61], v1, s[sgprSizeJ]            // coord1 < size1
s_and_b64 s[60:61], s[56:57], s[60:61]             // in0 && in1
_v_add_lshl_u32 v13, v3, v4, 0x3                   // scaleToBpe: accumulate d0 lower and *= bpe into Cin addr
v_cndmask_b32 v13, -1, v13, s[60:61]               // LDD clip if OOB. offset
v_accvgpr_read_b32 v[vgprValuC+8], acc35 // copy acc to vreg[88]
v_accvgpr_read_b32 v[vgprValuC+9], acc147 // copy acc to vreg[89]
v_accvgpr_read_b32 v[vgprValuC+10], acc39 // copy acc to vreg[90]
v_accvgpr_read_b32 v[vgprValuC+11], acc151 // copy acc to vreg[91]
v_accvgpr_read_b32 v[vgprValuC+14], acc43 // copy acc to vreg[92]
v_accvgpr_read_b32 v[vgprValuC+15], acc155 // copy acc to vreg[93]
v_accvgpr_read_b32 v[vgprValuC+16], acc47 // copy acc to vreg[94]
v_accvgpr_read_b32 v[vgprValuC+17], acc159 // copy acc to vreg[95]
s_nop 1                                            // 2 wait states required before reading vgpr

/* rC *= alpha batchElements=[(2, 0, 3, 0), (2, 0, 3, 1), (2, 1, 3, 0), (2, 1, 3, 1)] */
v_mov_b32 v18, v[vgprValuC+8]                      // store Cr
v_mul_f32 v[vgprValuC+8], s[sgprAlpha], v[vgprValuC+8] // *= alpha ( Cr = Ar * Cr)
_v_mac_f32 v[vgprValuC+8], -s[sgprAlpha+1], v[vgprValuC+9] // *= alpha ( Cr += -Ai * Ci )
v_mul_f32 v[vgprValuC+9], s[sgprAlpha], v[vgprValuC+9] // *= alpha ( Ci = Ar * Ci)
_v_mac_f32 v[vgprValuC+9], s[sgprAlpha+1], v18     // *= alpha ( Ci += Ai * Cr_backup )
v_mov_b32 v18, v[vgprValuC+10]                     // store Cr
v_mul_f32 v[vgprValuC+10], s[sgprAlpha], v[vgprValuC+10] // *= alpha ( Cr = Ar * Cr)
_v_mac_f32 v[vgprValuC+10], -s[sgprAlpha+1], v[vgprValuC+11] // *= alpha ( Cr += -Ai * Ci )
v_mul_f32 v[vgprValuC+11], s[sgprAlpha], v[vgprValuC+11] // *= alpha ( Ci = Ar * Ci)
_v_mac_f32 v[vgprValuC+11], s[sgprAlpha+1], v18    // *= alpha ( Ci += Ai * Cr_backup )
v_mov_b32 v18, v[vgprValuC+14]                     // store Cr
v_mul_f32 v[vgprValuC+14], s[sgprAlpha], v[vgprValuC+14] // *= alpha ( Cr = Ar * Cr)
_v_mac_f32 v[vgprValuC+14], -s[sgprAlpha+1], v[vgprValuC+15] // *= alpha ( Cr += -Ai * Ci )
v_mul_f32 v[vgprValuC+15], s[sgprAlpha], v[vgprValuC+15] // *= alpha ( Ci = Ar * Ci)
_v_mac_f32 v[vgprValuC+15], s[sgprAlpha+1], v18    // *= alpha ( Ci += Ai * Cr_backup )
	;; [unrolled: 5-line block ×3, first 2 shown]

/* apply mask, calc new C and issue writes */
_buffer_store_b64 v[8:9], v6, s[sgprSrdD:sgprSrdD+3], 0, offen, offset:0,  nt // store D
_buffer_store_b64 v[10:11], v7, s[sgprSrdD:sgprSrdD+3], 0, offen, offset:0,  nt // store D
	;; [unrolled: 1-line block ×4, first 2 shown]
s_nop 0                                            // 1 wait state required when next inst writes vgprs held by previous dwordx4 store inst
/* optSingleColVgpr=0 optSharedColVgpr=0 optSGPRUsage=BufferLoad_Edge_Mask optSrdIncForRow=0 */
s_sleep 3 // optimization: sync and wait
s_barrier

/******************************************/
/* Global Write Alpha Edge Batch #12 (d1,d0,vc1,vc0) = */
/*    (3,0,0,0:vw1); (3,0,0,1:vw1); (3,1,0,0:vw1); (3,1,0,1:vw1) */
/******************************************/

/* calc coords, apply mask, and issue loads (if necessary) */
/* (d1,vc1,d0,vc0)=(3,0,0,0) */
_v_add_co_u32 v1, vcc, v1, 13                      // coord1.1: coord1Vgpr += d1*sg1*VW + vc1

/* Fix for UseInitialStridesCD, emitAddressSetupCode */
s_mul_i32 s56, s[sgprStrideC1J], 13                // scale stride
_v_add_u32 v2, v2, s56                             // ROWINC- Move cinRowPtr to next row
s_mul_i32 s56, s[sgprStrideD1J], 13                // scale stride
_v_add_u32 v3, v3, s56                             // Move coutRowPtr to next row
v_cmp_lt_u32 s[56:57], v0, s[sgprSizeI]            // coord0 < size0
v_cmp_lt_u32 s[60:61], v1, s[sgprSizeJ]            // coord1 < size1
s_and_b64 s[60:61], s[56:57], s[60:61]             // in0 && in1
_v_add_lshl_u32 v6, v3, v0, 0x3                    // scaleToBpe: accumulate d0 lower and *= bpe into Cin addr
v_cndmask_b32 v6, -1, v6, s[60:61]                 // LDD clip if OOB. offset
/* (d1,vc1,d0,vc0)=(3,0,0,1) */
_v_add_co_u32 v4, vcc, v0, 1                       // coord0.1: coord0 += d0*sg0*VW + vc0
v_cmp_lt_u32 s[56:57], v4, s[sgprSizeI]            // coord0 < size0
v_cmp_lt_u32 s[60:61], v1, s[sgprSizeJ]            // coord1 < size1
s_and_b64 s[60:61], s[56:57], s[60:61]             // in0 && in1
_v_add_lshl_u32 v7, v3, v4, 0x3                    // scaleToBpe: accumulate d0 lower and *= bpe into Cin addr
v_cndmask_b32 v7, -1, v7, s[60:61]                 // LDD clip if OOB. offset
/* (d1,vc1,d0,vc0)=(3,0,1,0) */
s_mov_b32 s56, 128                                 // coordOffset0 d0=1 vc0=0
_v_add_co_u32 v4, vcc, v0, s56                     // coord0.2: coord0 += d0*sg0*VW + vc0
v_cmp_lt_u32 s[56:57], v4, s[sgprSizeI]            // coord0 < size0
v_cmp_lt_u32 s[60:61], v1, s[sgprSizeJ]            // coord1 < size1
s_and_b64 s[60:61], s[56:57], s[60:61]             // in0 && in1
_v_add_lshl_u32 v12, v3, v4, 0x3                   // scaleToBpe: accumulate d0 lower and *= bpe into Cin addr
v_cndmask_b32 v12, -1, v12, s[60:61]               // LDD clip if OOB. offset
/* (d1,vc1,d0,vc0)=(3,0,1,1) */
s_mov_b32 s56, 129                                 // coordOffset0 d0=1 vc0=1
_v_add_co_u32 v4, vcc, v0, s56                     // coord0.2: coord0 += d0*sg0*VW + vc0
v_cmp_lt_u32 s[56:57], v4, s[sgprSizeI]            // coord0 < size0
v_cmp_lt_u32 s[60:61], v1, s[sgprSizeJ]            // coord1 < size1
s_and_b64 s[60:61], s[56:57], s[60:61]             // in0 && in1
_v_add_lshl_u32 v13, v3, v4, 0x3                   // scaleToBpe: accumulate d0 lower and *= bpe into Cin addr
v_cndmask_b32 v13, -1, v13, s[60:61]               // LDD clip if OOB. offset
v_accvgpr_read_b32 v[vgprValuC+8], acc48 // copy acc to vreg[96]
v_accvgpr_read_b32 v[vgprValuC+9], acc160 // copy acc to vreg[97]
v_accvgpr_read_b32 v[vgprValuC+10], acc52 // copy acc to vreg[98]
v_accvgpr_read_b32 v[vgprValuC+11], acc164 // copy acc to vreg[99]
v_accvgpr_read_b32 v[vgprValuC+14], acc56 // copy acc to vreg[100]
v_accvgpr_read_b32 v[vgprValuC+15], acc168 // copy acc to vreg[101]
v_accvgpr_read_b32 v[vgprValuC+16], acc60 // copy acc to vreg[102]
v_accvgpr_read_b32 v[vgprValuC+17], acc172 // copy acc to vreg[103]
s_nop 1                                            // 2 wait states required before reading vgpr

/* rC *= alpha batchElements=[(3, 0, 0, 0), (3, 0, 0, 1), (3, 1, 0, 0), (3, 1, 0, 1)] */
v_mov_b32 v18, v[vgprValuC+8]                      // store Cr
v_mul_f32 v[vgprValuC+8], s[sgprAlpha], v[vgprValuC+8] // *= alpha ( Cr = Ar * Cr)
_v_mac_f32 v[vgprValuC+8], -s[sgprAlpha+1], v[vgprValuC+9] // *= alpha ( Cr += -Ai * Ci )
v_mul_f32 v[vgprValuC+9], s[sgprAlpha], v[vgprValuC+9] // *= alpha ( Ci = Ar * Ci)
_v_mac_f32 v[vgprValuC+9], s[sgprAlpha+1], v18     // *= alpha ( Ci += Ai * Cr_backup )
v_mov_b32 v18, v[vgprValuC+10]                     // store Cr
v_mul_f32 v[vgprValuC+10], s[sgprAlpha], v[vgprValuC+10] // *= alpha ( Cr = Ar * Cr)
_v_mac_f32 v[vgprValuC+10], -s[sgprAlpha+1], v[vgprValuC+11] // *= alpha ( Cr += -Ai * Ci )
v_mul_f32 v[vgprValuC+11], s[sgprAlpha], v[vgprValuC+11] // *= alpha ( Ci = Ar * Ci)
_v_mac_f32 v[vgprValuC+11], s[sgprAlpha+1], v18    // *= alpha ( Ci += Ai * Cr_backup )
v_mov_b32 v18, v[vgprValuC+14]                     // store Cr
v_mul_f32 v[vgprValuC+14], s[sgprAlpha], v[vgprValuC+14] // *= alpha ( Cr = Ar * Cr)
_v_mac_f32 v[vgprValuC+14], -s[sgprAlpha+1], v[vgprValuC+15] // *= alpha ( Cr += -Ai * Ci )
v_mul_f32 v[vgprValuC+15], s[sgprAlpha], v[vgprValuC+15] // *= alpha ( Ci = Ar * Ci)
_v_mac_f32 v[vgprValuC+15], s[sgprAlpha+1], v18    // *= alpha ( Ci += Ai * Cr_backup )
v_mov_b32 v18, v[vgprValuC+16]                     // store Cr
v_mul_f32 v[vgprValuC+16], s[sgprAlpha], v[vgprValuC+16] // *= alpha ( Cr = Ar * Cr)
_v_mac_f32 v[vgprValuC+16], -s[sgprAlpha+1], v[vgprValuC+17] // *= alpha ( Cr += -Ai * Ci )
v_mul_f32 v[vgprValuC+17], s[sgprAlpha], v[vgprValuC+17] // *= alpha ( Ci = Ar * Ci)
_v_mac_f32 v[vgprValuC+17], s[sgprAlpha+1], v18    // *= alpha ( Ci += Ai * Cr_backup )

/* apply mask, calc new C and issue writes */
_buffer_store_b64 v[8:9], v6, s[sgprSrdD:sgprSrdD+3], 0, offen, offset:0,  nt // store D
_buffer_store_b64 v[10:11], v7, s[sgprSrdD:sgprSrdD+3], 0, offen, offset:0,  nt // store D
	;; [unrolled: 1-line block ×4, first 2 shown]
s_nop 0                                            // 1 wait state required when next inst writes vgprs held by previous dwordx4 store inst
/* optSingleColVgpr=0 optSharedColVgpr=0 optSGPRUsage=BufferLoad_Edge_Mask optSrdIncForRow=0 */
s_sleep 3 // optimization: sync and wait
s_barrier

/******************************************/
/* Global Write Alpha Edge Batch #13 (d1,d0,vc1,vc0) = */
/*    (3,0,1,0:vw1); (3,0,1,1:vw1); (3,1,1,0:vw1); (3,1,1,1:vw1) */
/******************************************/

/* calc coords, apply mask, and issue loads (if necessary) */
/* (d1,vc1,d0,vc0)=(3,1,0,0) */
_v_add_co_u32 v1, vcc, v1, 1                       // coord1.1: coord1Vgpr += d1*sg1*VW + vc1

/* Fix for UseInitialStridesCD, emitAddressSetupCode */
_v_add_u32 v2, v2, s[sgprStrideC1J]                // ROWINC- Move cinRowPtr to next row
_v_add_u32 v3, v3, s[sgprStrideD1J]                // Move coutRowPtr to next row
v_cmp_lt_u32 s[56:57], v0, s[sgprSizeI]            // coord0 < size0
v_cmp_lt_u32 s[60:61], v1, s[sgprSizeJ]            // coord1 < size1
s_and_b64 s[60:61], s[56:57], s[60:61]             // in0 && in1
_v_add_lshl_u32 v6, v3, v0, 0x3                    // scaleToBpe: accumulate d0 lower and *= bpe into Cin addr
v_cndmask_b32 v6, -1, v6, s[60:61]                 // LDD clip if OOB. offset
/* (d1,vc1,d0,vc0)=(3,1,0,1) */
_v_add_co_u32 v4, vcc, v0, 1                       // coord0.1: coord0 += d0*sg0*VW + vc0
v_cmp_lt_u32 s[56:57], v4, s[sgprSizeI]            // coord0 < size0
v_cmp_lt_u32 s[60:61], v1, s[sgprSizeJ]            // coord1 < size1
s_and_b64 s[60:61], s[56:57], s[60:61]             // in0 && in1
_v_add_lshl_u32 v7, v3, v4, 0x3                    // scaleToBpe: accumulate d0 lower and *= bpe into Cin addr
v_cndmask_b32 v7, -1, v7, s[60:61]                 // LDD clip if OOB. offset
/* (d1,vc1,d0,vc0)=(3,1,1,0) */
s_mov_b32 s56, 128                                 // coordOffset0 d0=1 vc0=0
_v_add_co_u32 v4, vcc, v0, s56                     // coord0.2: coord0 += d0*sg0*VW + vc0
v_cmp_lt_u32 s[56:57], v4, s[sgprSizeI]            // coord0 < size0
v_cmp_lt_u32 s[60:61], v1, s[sgprSizeJ]            // coord1 < size1
s_and_b64 s[60:61], s[56:57], s[60:61]             // in0 && in1
_v_add_lshl_u32 v12, v3, v4, 0x3                   // scaleToBpe: accumulate d0 lower and *= bpe into Cin addr
v_cndmask_b32 v12, -1, v12, s[60:61]               // LDD clip if OOB. offset
/* (d1,vc1,d0,vc0)=(3,1,1,1) */
s_mov_b32 s56, 129                                 // coordOffset0 d0=1 vc0=1
_v_add_co_u32 v4, vcc, v0, s56                     // coord0.2: coord0 += d0*sg0*VW + vc0
v_cmp_lt_u32 s[56:57], v4, s[sgprSizeI]            // coord0 < size0
v_cmp_lt_u32 s[60:61], v1, s[sgprSizeJ]            // coord1 < size1
s_and_b64 s[60:61], s[56:57], s[60:61]             // in0 && in1
_v_add_lshl_u32 v13, v3, v4, 0x3                   // scaleToBpe: accumulate d0 lower and *= bpe into Cin addr
v_cndmask_b32 v13, -1, v13, s[60:61]               // LDD clip if OOB. offset
v_accvgpr_read_b32 v[vgprValuC+8], acc49 // copy acc to vreg[104]
v_accvgpr_read_b32 v[vgprValuC+9], acc161 // copy acc to vreg[105]
v_accvgpr_read_b32 v[vgprValuC+10], acc53 // copy acc to vreg[106]
v_accvgpr_read_b32 v[vgprValuC+11], acc165 // copy acc to vreg[107]
v_accvgpr_read_b32 v[vgprValuC+14], acc57 // copy acc to vreg[108]
v_accvgpr_read_b32 v[vgprValuC+15], acc169 // copy acc to vreg[109]
v_accvgpr_read_b32 v[vgprValuC+16], acc61 // copy acc to vreg[110]
v_accvgpr_read_b32 v[vgprValuC+17], acc173 // copy acc to vreg[111]
s_nop 1                                            // 2 wait states required before reading vgpr

/* rC *= alpha batchElements=[(3, 0, 1, 0), (3, 0, 1, 1), (3, 1, 1, 0), (3, 1, 1, 1)] */
v_mov_b32 v18, v[vgprValuC+8]                      // store Cr
v_mul_f32 v[vgprValuC+8], s[sgprAlpha], v[vgprValuC+8] // *= alpha ( Cr = Ar * Cr)
_v_mac_f32 v[vgprValuC+8], -s[sgprAlpha+1], v[vgprValuC+9] // *= alpha ( Cr += -Ai * Ci )
v_mul_f32 v[vgprValuC+9], s[sgprAlpha], v[vgprValuC+9] // *= alpha ( Ci = Ar * Ci)
_v_mac_f32 v[vgprValuC+9], s[sgprAlpha+1], v18     // *= alpha ( Ci += Ai * Cr_backup )
v_mov_b32 v18, v[vgprValuC+10]                     // store Cr
v_mul_f32 v[vgprValuC+10], s[sgprAlpha], v[vgprValuC+10] // *= alpha ( Cr = Ar * Cr)
_v_mac_f32 v[vgprValuC+10], -s[sgprAlpha+1], v[vgprValuC+11] // *= alpha ( Cr += -Ai * Ci )
v_mul_f32 v[vgprValuC+11], s[sgprAlpha], v[vgprValuC+11] // *= alpha ( Ci = Ar * Ci)
_v_mac_f32 v[vgprValuC+11], s[sgprAlpha+1], v18    // *= alpha ( Ci += Ai * Cr_backup )
v_mov_b32 v18, v[vgprValuC+14]                     // store Cr
v_mul_f32 v[vgprValuC+14], s[sgprAlpha], v[vgprValuC+14] // *= alpha ( Cr = Ar * Cr)
_v_mac_f32 v[vgprValuC+14], -s[sgprAlpha+1], v[vgprValuC+15] // *= alpha ( Cr += -Ai * Ci )
v_mul_f32 v[vgprValuC+15], s[sgprAlpha], v[vgprValuC+15] // *= alpha ( Ci = Ar * Ci)
_v_mac_f32 v[vgprValuC+15], s[sgprAlpha+1], v18    // *= alpha ( Ci += Ai * Cr_backup )
	;; [unrolled: 5-line block ×3, first 2 shown]

/* apply mask, calc new C and issue writes */
_buffer_store_b64 v[8:9], v6, s[sgprSrdD:sgprSrdD+3], 0, offen, offset:0,  nt // store D
_buffer_store_b64 v[10:11], v7, s[sgprSrdD:sgprSrdD+3], 0, offen, offset:0,  nt // store D
	;; [unrolled: 1-line block ×4, first 2 shown]
s_nop 0                                            // 1 wait state required when next inst writes vgprs held by previous dwordx4 store inst
/* optSingleColVgpr=0 optSharedColVgpr=0 optSGPRUsage=BufferLoad_Edge_Mask optSrdIncForRow=0 */
s_sleep 3 // optimization: sync and wait
s_barrier

/******************************************/
/* Global Write Alpha Edge Batch #14 (d1,d0,vc1,vc0) = */
/*    (3,0,2,0:vw1); (3,0,2,1:vw1); (3,1,2,0:vw1); (3,1,2,1:vw1) */
/******************************************/

/* calc coords, apply mask, and issue loads (if necessary) */
/* (d1,vc1,d0,vc0)=(3,2,0,0) */
_v_add_co_u32 v1, vcc, v1, 1                       // coord1.1: coord1Vgpr += d1*sg1*VW + vc1

/* Fix for UseInitialStridesCD, emitAddressSetupCode */
_v_add_u32 v2, v2, s[sgprStrideC1J]                // ROWINC- Move cinRowPtr to next row
_v_add_u32 v3, v3, s[sgprStrideD1J]                // Move coutRowPtr to next row
v_cmp_lt_u32 s[56:57], v0, s[sgprSizeI]            // coord0 < size0
v_cmp_lt_u32 s[60:61], v1, s[sgprSizeJ]            // coord1 < size1
s_and_b64 s[60:61], s[56:57], s[60:61]             // in0 && in1
_v_add_lshl_u32 v6, v3, v0, 0x3                    // scaleToBpe: accumulate d0 lower and *= bpe into Cin addr
v_cndmask_b32 v6, -1, v6, s[60:61]                 // LDD clip if OOB. offset
/* (d1,vc1,d0,vc0)=(3,2,0,1) */
_v_add_co_u32 v4, vcc, v0, 1                       // coord0.1: coord0 += d0*sg0*VW + vc0
v_cmp_lt_u32 s[56:57], v4, s[sgprSizeI]            // coord0 < size0
v_cmp_lt_u32 s[60:61], v1, s[sgprSizeJ]            // coord1 < size1
s_and_b64 s[60:61], s[56:57], s[60:61]             // in0 && in1
_v_add_lshl_u32 v7, v3, v4, 0x3                    // scaleToBpe: accumulate d0 lower and *= bpe into Cin addr
v_cndmask_b32 v7, -1, v7, s[60:61]                 // LDD clip if OOB. offset
/* (d1,vc1,d0,vc0)=(3,2,1,0) */
s_mov_b32 s56, 128                                 // coordOffset0 d0=1 vc0=0
_v_add_co_u32 v4, vcc, v0, s56                     // coord0.2: coord0 += d0*sg0*VW + vc0
v_cmp_lt_u32 s[56:57], v4, s[sgprSizeI]            // coord0 < size0
v_cmp_lt_u32 s[60:61], v1, s[sgprSizeJ]            // coord1 < size1
s_and_b64 s[60:61], s[56:57], s[60:61]             // in0 && in1
_v_add_lshl_u32 v12, v3, v4, 0x3                   // scaleToBpe: accumulate d0 lower and *= bpe into Cin addr
v_cndmask_b32 v12, -1, v12, s[60:61]               // LDD clip if OOB. offset
/* (d1,vc1,d0,vc0)=(3,2,1,1) */
s_mov_b32 s56, 129                                 // coordOffset0 d0=1 vc0=1
_v_add_co_u32 v4, vcc, v0, s56                     // coord0.2: coord0 += d0*sg0*VW + vc0
v_cmp_lt_u32 s[56:57], v4, s[sgprSizeI]            // coord0 < size0
v_cmp_lt_u32 s[60:61], v1, s[sgprSizeJ]            // coord1 < size1
s_and_b64 s[60:61], s[56:57], s[60:61]             // in0 && in1
_v_add_lshl_u32 v13, v3, v4, 0x3                   // scaleToBpe: accumulate d0 lower and *= bpe into Cin addr
v_cndmask_b32 v13, -1, v13, s[60:61]               // LDD clip if OOB. offset
v_accvgpr_read_b32 v[vgprValuC+8], acc50 // copy acc to vreg[112]
v_accvgpr_read_b32 v[vgprValuC+9], acc162 // copy acc to vreg[113]
v_accvgpr_read_b32 v[vgprValuC+10], acc54 // copy acc to vreg[114]
v_accvgpr_read_b32 v[vgprValuC+11], acc166 // copy acc to vreg[115]
v_accvgpr_read_b32 v[vgprValuC+14], acc58 // copy acc to vreg[116]
v_accvgpr_read_b32 v[vgprValuC+15], acc170 // copy acc to vreg[117]
v_accvgpr_read_b32 v[vgprValuC+16], acc62 // copy acc to vreg[118]
v_accvgpr_read_b32 v[vgprValuC+17], acc174 // copy acc to vreg[119]
s_nop 1                                            // 2 wait states required before reading vgpr

/* rC *= alpha batchElements=[(3, 0, 2, 0), (3, 0, 2, 1), (3, 1, 2, 0), (3, 1, 2, 1)] */
v_mov_b32 v18, v[vgprValuC+8]                      // store Cr
v_mul_f32 v[vgprValuC+8], s[sgprAlpha], v[vgprValuC+8] // *= alpha ( Cr = Ar * Cr)
_v_mac_f32 v[vgprValuC+8], -s[sgprAlpha+1], v[vgprValuC+9] // *= alpha ( Cr += -Ai * Ci )
v_mul_f32 v[vgprValuC+9], s[sgprAlpha], v[vgprValuC+9] // *= alpha ( Ci = Ar * Ci)
_v_mac_f32 v[vgprValuC+9], s[sgprAlpha+1], v18     // *= alpha ( Ci += Ai * Cr_backup )
v_mov_b32 v18, v[vgprValuC+10]                     // store Cr
v_mul_f32 v[vgprValuC+10], s[sgprAlpha], v[vgprValuC+10] // *= alpha ( Cr = Ar * Cr)
_v_mac_f32 v[vgprValuC+10], -s[sgprAlpha+1], v[vgprValuC+11] // *= alpha ( Cr += -Ai * Ci )
v_mul_f32 v[vgprValuC+11], s[sgprAlpha], v[vgprValuC+11] // *= alpha ( Ci = Ar * Ci)
_v_mac_f32 v[vgprValuC+11], s[sgprAlpha+1], v18    // *= alpha ( Ci += Ai * Cr_backup )
v_mov_b32 v18, v[vgprValuC+14]                     // store Cr
v_mul_f32 v[vgprValuC+14], s[sgprAlpha], v[vgprValuC+14] // *= alpha ( Cr = Ar * Cr)
_v_mac_f32 v[vgprValuC+14], -s[sgprAlpha+1], v[vgprValuC+15] // *= alpha ( Cr += -Ai * Ci )
v_mul_f32 v[vgprValuC+15], s[sgprAlpha], v[vgprValuC+15] // *= alpha ( Ci = Ar * Ci)
_v_mac_f32 v[vgprValuC+15], s[sgprAlpha+1], v18    // *= alpha ( Ci += Ai * Cr_backup )
	;; [unrolled: 5-line block ×3, first 2 shown]

/* apply mask, calc new C and issue writes */
_buffer_store_b64 v[8:9], v6, s[sgprSrdD:sgprSrdD+3], 0, offen, offset:0,  nt // store D
_buffer_store_b64 v[10:11], v7, s[sgprSrdD:sgprSrdD+3], 0, offen, offset:0,  nt // store D
	;; [unrolled: 1-line block ×4, first 2 shown]
s_nop 0                                            // 1 wait state required when next inst writes vgprs held by previous dwordx4 store inst
/* optSingleColVgpr=0 optSharedColVgpr=0 optSGPRUsage=BufferLoad_Edge_Mask optSrdIncForRow=0 */
s_sleep 3 // optimization: sync and wait
s_barrier

/******************************************/
/* Global Write Alpha Edge Batch #15 (d1,d0,vc1,vc0) = */
/*    (3,0,3,0:vw1); (3,0,3,1:vw1); (3,1,3,0:vw1); (3,1,3,1:vw1) */
/******************************************/

/* calc coords, apply mask, and issue loads (if necessary) */
/* (d1,vc1,d0,vc0)=(3,3,0,0) */
_v_add_co_u32 v1, vcc, v1, 1                       // coord1.1: coord1Vgpr += d1*sg1*VW + vc1

/* Fix for UseInitialStridesCD, emitAddressSetupCode */
_v_add_u32 v2, v2, s[sgprStrideC1J]                // ROWINC- Move cinRowPtr to next row
_v_add_u32 v3, v3, s[sgprStrideD1J]                // Move coutRowPtr to next row
v_cmp_lt_u32 s[56:57], v0, s[sgprSizeI]            // coord0 < size0
v_cmp_lt_u32 s[60:61], v1, s[sgprSizeJ]            // coord1 < size1
s_and_b64 s[60:61], s[56:57], s[60:61]             // in0 && in1
_v_add_lshl_u32 v6, v3, v0, 0x3                    // scaleToBpe: accumulate d0 lower and *= bpe into Cin addr
v_cndmask_b32 v6, -1, v6, s[60:61]                 // LDD clip if OOB. offset
/* (d1,vc1,d0,vc0)=(3,3,0,1) */
_v_add_co_u32 v4, vcc, v0, 1                       // coord0.1: coord0 += d0*sg0*VW + vc0
v_cmp_lt_u32 s[56:57], v4, s[sgprSizeI]            // coord0 < size0
v_cmp_lt_u32 s[60:61], v1, s[sgprSizeJ]            // coord1 < size1
s_and_b64 s[60:61], s[56:57], s[60:61]             // in0 && in1
_v_add_lshl_u32 v7, v3, v4, 0x3                    // scaleToBpe: accumulate d0 lower and *= bpe into Cin addr
v_cndmask_b32 v7, -1, v7, s[60:61]                 // LDD clip if OOB. offset
/* (d1,vc1,d0,vc0)=(3,3,1,0) */
s_mov_b32 s56, 128                                 // coordOffset0 d0=1 vc0=0
_v_add_co_u32 v4, vcc, v0, s56                     // coord0.2: coord0 += d0*sg0*VW + vc0
v_cmp_lt_u32 s[56:57], v4, s[sgprSizeI]            // coord0 < size0
v_cmp_lt_u32 s[60:61], v1, s[sgprSizeJ]            // coord1 < size1
s_and_b64 s[60:61], s[56:57], s[60:61]             // in0 && in1
_v_add_lshl_u32 v12, v3, v4, 0x3                   // scaleToBpe: accumulate d0 lower and *= bpe into Cin addr
v_cndmask_b32 v12, -1, v12, s[60:61]               // LDD clip if OOB. offset
/* (d1,vc1,d0,vc0)=(3,3,1,1) */
s_mov_b32 s56, 129                                 // coordOffset0 d0=1 vc0=1
_v_add_co_u32 v4, vcc, v0, s56                     // coord0.2: coord0 += d0*sg0*VW + vc0
v_cmp_lt_u32 s[56:57], v4, s[sgprSizeI]            // coord0 < size0
v_cmp_lt_u32 s[60:61], v1, s[sgprSizeJ]            // coord1 < size1
s_and_b64 s[60:61], s[56:57], s[60:61]             // in0 && in1
_v_add_lshl_u32 v13, v3, v4, 0x3                   // scaleToBpe: accumulate d0 lower and *= bpe into Cin addr
v_cndmask_b32 v13, -1, v13, s[60:61]               // LDD clip if OOB. offset
v_accvgpr_read_b32 v[vgprValuC+8], acc51 // copy acc to vreg[120]
v_accvgpr_read_b32 v[vgprValuC+9], acc163 // copy acc to vreg[121]
v_accvgpr_read_b32 v[vgprValuC+10], acc55 // copy acc to vreg[122]
v_accvgpr_read_b32 v[vgprValuC+11], acc167 // copy acc to vreg[123]
v_accvgpr_read_b32 v[vgprValuC+14], acc59 // copy acc to vreg[124]
v_accvgpr_read_b32 v[vgprValuC+15], acc171 // copy acc to vreg[125]
v_accvgpr_read_b32 v[vgprValuC+16], acc63 // copy acc to vreg[126]
v_accvgpr_read_b32 v[vgprValuC+17], acc175 // copy acc to vreg[127]
s_nop 1                                            // 2 wait states required before reading vgpr

/* rC *= alpha batchElements=[(3, 0, 3, 0), (3, 0, 3, 1), (3, 1, 3, 0), (3, 1, 3, 1)] */
v_mov_b32 v18, v[vgprValuC+8]                      // store Cr
v_mul_f32 v[vgprValuC+8], s[sgprAlpha], v[vgprValuC+8] // *= alpha ( Cr = Ar * Cr)
_v_mac_f32 v[vgprValuC+8], -s[sgprAlpha+1], v[vgprValuC+9] // *= alpha ( Cr += -Ai * Ci )
v_mul_f32 v[vgprValuC+9], s[sgprAlpha], v[vgprValuC+9] // *= alpha ( Ci = Ar * Ci)
_v_mac_f32 v[vgprValuC+9], s[sgprAlpha+1], v18     // *= alpha ( Ci += Ai * Cr_backup )
v_mov_b32 v18, v[vgprValuC+10]                     // store Cr
v_mul_f32 v[vgprValuC+10], s[sgprAlpha], v[vgprValuC+10] // *= alpha ( Cr = Ar * Cr)
_v_mac_f32 v[vgprValuC+10], -s[sgprAlpha+1], v[vgprValuC+11] // *= alpha ( Cr += -Ai * Ci )
v_mul_f32 v[vgprValuC+11], s[sgprAlpha], v[vgprValuC+11] // *= alpha ( Ci = Ar * Ci)
_v_mac_f32 v[vgprValuC+11], s[sgprAlpha+1], v18    // *= alpha ( Ci += Ai * Cr_backup )
v_mov_b32 v18, v[vgprValuC+14]                     // store Cr
v_mul_f32 v[vgprValuC+14], s[sgprAlpha], v[vgprValuC+14] // *= alpha ( Cr = Ar * Cr)
_v_mac_f32 v[vgprValuC+14], -s[sgprAlpha+1], v[vgprValuC+15] // *= alpha ( Cr += -Ai * Ci )
v_mul_f32 v[vgprValuC+15], s[sgprAlpha], v[vgprValuC+15] // *= alpha ( Ci = Ar * Ci)
_v_mac_f32 v[vgprValuC+15], s[sgprAlpha+1], v18    // *= alpha ( Ci += Ai * Cr_backup )
	;; [unrolled: 5-line block ×3, first 2 shown]

/* apply mask, calc new C and issue writes */
_buffer_store_b64 v[8:9], v6, s[sgprSrdD:sgprSrdD+3], 0, offen, offset:0,  nt // store D
_buffer_store_b64 v[10:11], v7, s[sgprSrdD:sgprSrdD+3], 0, offen, offset:0,  nt // store D
	;; [unrolled: 1-line block ×4, first 2 shown]
s_nop 0                                            // 1 wait state required when next inst writes vgprs held by previous dwordx4 store inst
/* optSingleColVgpr=0 optSharedColVgpr=0 optSGPRUsage=BufferLoad_Edge_Mask optSrdIncForRow=0 */
s_sleep 3 // optimization: sync and wait
s_barrier

/******************************************/
/* Global Write Alpha Edge Batch #16 (d1,d0,vc1,vc0) = */
/*    (4,0,0,0:vw1); (4,0,0,1:vw1); (4,1,0,0:vw1); (4,1,0,1:vw1) */
/******************************************/

/* calc coords, apply mask, and issue loads (if necessary) */
/* (d1,vc1,d0,vc0)=(4,0,0,0) */
_v_add_co_u32 v1, vcc, v1, 13                      // coord1.1: coord1Vgpr += d1*sg1*VW + vc1

/* Fix for UseInitialStridesCD, emitAddressSetupCode */
s_mul_i32 s56, s[sgprStrideC1J], 13                // scale stride
_v_add_u32 v2, v2, s56                             // ROWINC- Move cinRowPtr to next row
s_mul_i32 s56, s[sgprStrideD1J], 13                // scale stride
_v_add_u32 v3, v3, s56                             // Move coutRowPtr to next row
v_cmp_lt_u32 s[56:57], v0, s[sgprSizeI]            // coord0 < size0
v_cmp_lt_u32 s[60:61], v1, s[sgprSizeJ]            // coord1 < size1
s_and_b64 s[60:61], s[56:57], s[60:61]             // in0 && in1
_v_add_lshl_u32 v6, v3, v0, 0x3                    // scaleToBpe: accumulate d0 lower and *= bpe into Cin addr
v_cndmask_b32 v6, -1, v6, s[60:61]                 // LDD clip if OOB. offset
/* (d1,vc1,d0,vc0)=(4,0,0,1) */
_v_add_co_u32 v4, vcc, v0, 1                       // coord0.1: coord0 += d0*sg0*VW + vc0
v_cmp_lt_u32 s[56:57], v4, s[sgprSizeI]            // coord0 < size0
v_cmp_lt_u32 s[60:61], v1, s[sgprSizeJ]            // coord1 < size1
s_and_b64 s[60:61], s[56:57], s[60:61]             // in0 && in1
_v_add_lshl_u32 v7, v3, v4, 0x3                    // scaleToBpe: accumulate d0 lower and *= bpe into Cin addr
v_cndmask_b32 v7, -1, v7, s[60:61]                 // LDD clip if OOB. offset
/* (d1,vc1,d0,vc0)=(4,0,1,0) */
s_mov_b32 s56, 128                                 // coordOffset0 d0=1 vc0=0
_v_add_co_u32 v4, vcc, v0, s56                     // coord0.2: coord0 += d0*sg0*VW + vc0
v_cmp_lt_u32 s[56:57], v4, s[sgprSizeI]            // coord0 < size0
v_cmp_lt_u32 s[60:61], v1, s[sgprSizeJ]            // coord1 < size1
s_and_b64 s[60:61], s[56:57], s[60:61]             // in0 && in1
_v_add_lshl_u32 v12, v3, v4, 0x3                   // scaleToBpe: accumulate d0 lower and *= bpe into Cin addr
v_cndmask_b32 v12, -1, v12, s[60:61]               // LDD clip if OOB. offset
/* (d1,vc1,d0,vc0)=(4,0,1,1) */
s_mov_b32 s56, 129                                 // coordOffset0 d0=1 vc0=1
_v_add_co_u32 v4, vcc, v0, s56                     // coord0.2: coord0 += d0*sg0*VW + vc0
v_cmp_lt_u32 s[56:57], v4, s[sgprSizeI]            // coord0 < size0
v_cmp_lt_u32 s[60:61], v1, s[sgprSizeJ]            // coord1 < size1
s_and_b64 s[60:61], s[56:57], s[60:61]             // in0 && in1
_v_add_lshl_u32 v13, v3, v4, 0x3                   // scaleToBpe: accumulate d0 lower and *= bpe into Cin addr
v_cndmask_b32 v13, -1, v13, s[60:61]               // LDD clip if OOB. offset
v_accvgpr_read_b32 v[vgprValuC+8], acc64 // copy acc to vreg[128]
v_accvgpr_read_b32 v[vgprValuC+9], acc176 // copy acc to vreg[129]
v_accvgpr_read_b32 v[vgprValuC+10], acc68 // copy acc to vreg[130]
v_accvgpr_read_b32 v[vgprValuC+11], acc180 // copy acc to vreg[131]
v_accvgpr_read_b32 v[vgprValuC+14], acc72 // copy acc to vreg[132]
v_accvgpr_read_b32 v[vgprValuC+15], acc184 // copy acc to vreg[133]
v_accvgpr_read_b32 v[vgprValuC+16], acc76 // copy acc to vreg[134]
v_accvgpr_read_b32 v[vgprValuC+17], acc188 // copy acc to vreg[135]
s_nop 1                                            // 2 wait states required before reading vgpr

/* rC *= alpha batchElements=[(4, 0, 0, 0), (4, 0, 0, 1), (4, 1, 0, 0), (4, 1, 0, 1)] */
v_mov_b32 v18, v[vgprValuC+8]                      // store Cr
v_mul_f32 v[vgprValuC+8], s[sgprAlpha], v[vgprValuC+8] // *= alpha ( Cr = Ar * Cr)
_v_mac_f32 v[vgprValuC+8], -s[sgprAlpha+1], v[vgprValuC+9] // *= alpha ( Cr += -Ai * Ci )
v_mul_f32 v[vgprValuC+9], s[sgprAlpha], v[vgprValuC+9] // *= alpha ( Ci = Ar * Ci)
_v_mac_f32 v[vgprValuC+9], s[sgprAlpha+1], v18     // *= alpha ( Ci += Ai * Cr_backup )
v_mov_b32 v18, v[vgprValuC+10]                     // store Cr
v_mul_f32 v[vgprValuC+10], s[sgprAlpha], v[vgprValuC+10] // *= alpha ( Cr = Ar * Cr)
_v_mac_f32 v[vgprValuC+10], -s[sgprAlpha+1], v[vgprValuC+11] // *= alpha ( Cr += -Ai * Ci )
v_mul_f32 v[vgprValuC+11], s[sgprAlpha], v[vgprValuC+11] // *= alpha ( Ci = Ar * Ci)
_v_mac_f32 v[vgprValuC+11], s[sgprAlpha+1], v18    // *= alpha ( Ci += Ai * Cr_backup )
v_mov_b32 v18, v[vgprValuC+14]                     // store Cr
v_mul_f32 v[vgprValuC+14], s[sgprAlpha], v[vgprValuC+14] // *= alpha ( Cr = Ar * Cr)
_v_mac_f32 v[vgprValuC+14], -s[sgprAlpha+1], v[vgprValuC+15] // *= alpha ( Cr += -Ai * Ci )
v_mul_f32 v[vgprValuC+15], s[sgprAlpha], v[vgprValuC+15] // *= alpha ( Ci = Ar * Ci)
_v_mac_f32 v[vgprValuC+15], s[sgprAlpha+1], v18    // *= alpha ( Ci += Ai * Cr_backup )
	;; [unrolled: 5-line block ×3, first 2 shown]

/* apply mask, calc new C and issue writes */
_buffer_store_b64 v[8:9], v6, s[sgprSrdD:sgprSrdD+3], 0, offen, offset:0,  nt // store D
_buffer_store_b64 v[10:11], v7, s[sgprSrdD:sgprSrdD+3], 0, offen, offset:0,  nt // store D
	;; [unrolled: 1-line block ×4, first 2 shown]
s_nop 0                                            // 1 wait state required when next inst writes vgprs held by previous dwordx4 store inst
/* optSingleColVgpr=0 optSharedColVgpr=0 optSGPRUsage=BufferLoad_Edge_Mask optSrdIncForRow=0 */
s_sleep 3 // optimization: sync and wait
s_barrier

/******************************************/
/* Global Write Alpha Edge Batch #17 (d1,d0,vc1,vc0) = */
/*    (4,0,1,0:vw1); (4,0,1,1:vw1); (4,1,1,0:vw1); (4,1,1,1:vw1) */
/******************************************/

/* calc coords, apply mask, and issue loads (if necessary) */
/* (d1,vc1,d0,vc0)=(4,1,0,0) */
_v_add_co_u32 v1, vcc, v1, 1                       // coord1.1: coord1Vgpr += d1*sg1*VW + vc1

/* Fix for UseInitialStridesCD, emitAddressSetupCode */
_v_add_u32 v2, v2, s[sgprStrideC1J]                // ROWINC- Move cinRowPtr to next row
_v_add_u32 v3, v3, s[sgprStrideD1J]                // Move coutRowPtr to next row
v_cmp_lt_u32 s[56:57], v0, s[sgprSizeI]            // coord0 < size0
v_cmp_lt_u32 s[60:61], v1, s[sgprSizeJ]            // coord1 < size1
s_and_b64 s[60:61], s[56:57], s[60:61]             // in0 && in1
_v_add_lshl_u32 v6, v3, v0, 0x3                    // scaleToBpe: accumulate d0 lower and *= bpe into Cin addr
v_cndmask_b32 v6, -1, v6, s[60:61]                 // LDD clip if OOB. offset
/* (d1,vc1,d0,vc0)=(4,1,0,1) */
_v_add_co_u32 v4, vcc, v0, 1                       // coord0.1: coord0 += d0*sg0*VW + vc0
v_cmp_lt_u32 s[56:57], v4, s[sgprSizeI]            // coord0 < size0
v_cmp_lt_u32 s[60:61], v1, s[sgprSizeJ]            // coord1 < size1
s_and_b64 s[60:61], s[56:57], s[60:61]             // in0 && in1
_v_add_lshl_u32 v7, v3, v4, 0x3                    // scaleToBpe: accumulate d0 lower and *= bpe into Cin addr
v_cndmask_b32 v7, -1, v7, s[60:61]                 // LDD clip if OOB. offset
/* (d1,vc1,d0,vc0)=(4,1,1,0) */
s_mov_b32 s56, 128                                 // coordOffset0 d0=1 vc0=0
_v_add_co_u32 v4, vcc, v0, s56                     // coord0.2: coord0 += d0*sg0*VW + vc0
v_cmp_lt_u32 s[56:57], v4, s[sgprSizeI]            // coord0 < size0
v_cmp_lt_u32 s[60:61], v1, s[sgprSizeJ]            // coord1 < size1
s_and_b64 s[60:61], s[56:57], s[60:61]             // in0 && in1
_v_add_lshl_u32 v12, v3, v4, 0x3                   // scaleToBpe: accumulate d0 lower and *= bpe into Cin addr
v_cndmask_b32 v12, -1, v12, s[60:61]               // LDD clip if OOB. offset
/* (d1,vc1,d0,vc0)=(4,1,1,1) */
s_mov_b32 s56, 129                                 // coordOffset0 d0=1 vc0=1
_v_add_co_u32 v4, vcc, v0, s56                     // coord0.2: coord0 += d0*sg0*VW + vc0
v_cmp_lt_u32 s[56:57], v4, s[sgprSizeI]            // coord0 < size0
v_cmp_lt_u32 s[60:61], v1, s[sgprSizeJ]            // coord1 < size1
s_and_b64 s[60:61], s[56:57], s[60:61]             // in0 && in1
_v_add_lshl_u32 v13, v3, v4, 0x3                   // scaleToBpe: accumulate d0 lower and *= bpe into Cin addr
v_cndmask_b32 v13, -1, v13, s[60:61]               // LDD clip if OOB. offset
v_accvgpr_read_b32 v[vgprValuC+8], acc65 // copy acc to vreg[136]
v_accvgpr_read_b32 v[vgprValuC+9], acc177 // copy acc to vreg[137]
v_accvgpr_read_b32 v[vgprValuC+10], acc69 // copy acc to vreg[138]
v_accvgpr_read_b32 v[vgprValuC+11], acc181 // copy acc to vreg[139]
v_accvgpr_read_b32 v[vgprValuC+14], acc73 // copy acc to vreg[140]
v_accvgpr_read_b32 v[vgprValuC+15], acc185 // copy acc to vreg[141]
v_accvgpr_read_b32 v[vgprValuC+16], acc77 // copy acc to vreg[142]
v_accvgpr_read_b32 v[vgprValuC+17], acc189 // copy acc to vreg[143]
s_nop 1                                            // 2 wait states required before reading vgpr

/* rC *= alpha batchElements=[(4, 0, 1, 0), (4, 0, 1, 1), (4, 1, 1, 0), (4, 1, 1, 1)] */
v_mov_b32 v18, v[vgprValuC+8]                      // store Cr
v_mul_f32 v[vgprValuC+8], s[sgprAlpha], v[vgprValuC+8] // *= alpha ( Cr = Ar * Cr)
_v_mac_f32 v[vgprValuC+8], -s[sgprAlpha+1], v[vgprValuC+9] // *= alpha ( Cr += -Ai * Ci )
v_mul_f32 v[vgprValuC+9], s[sgprAlpha], v[vgprValuC+9] // *= alpha ( Ci = Ar * Ci)
_v_mac_f32 v[vgprValuC+9], s[sgprAlpha+1], v18     // *= alpha ( Ci += Ai * Cr_backup )
v_mov_b32 v18, v[vgprValuC+10]                     // store Cr
v_mul_f32 v[vgprValuC+10], s[sgprAlpha], v[vgprValuC+10] // *= alpha ( Cr = Ar * Cr)
_v_mac_f32 v[vgprValuC+10], -s[sgprAlpha+1], v[vgprValuC+11] // *= alpha ( Cr += -Ai * Ci )
v_mul_f32 v[vgprValuC+11], s[sgprAlpha], v[vgprValuC+11] // *= alpha ( Ci = Ar * Ci)
_v_mac_f32 v[vgprValuC+11], s[sgprAlpha+1], v18    // *= alpha ( Ci += Ai * Cr_backup )
v_mov_b32 v18, v[vgprValuC+14]                     // store Cr
v_mul_f32 v[vgprValuC+14], s[sgprAlpha], v[vgprValuC+14] // *= alpha ( Cr = Ar * Cr)
_v_mac_f32 v[vgprValuC+14], -s[sgprAlpha+1], v[vgprValuC+15] // *= alpha ( Cr += -Ai * Ci )
v_mul_f32 v[vgprValuC+15], s[sgprAlpha], v[vgprValuC+15] // *= alpha ( Ci = Ar * Ci)
_v_mac_f32 v[vgprValuC+15], s[sgprAlpha+1], v18    // *= alpha ( Ci += Ai * Cr_backup )
	;; [unrolled: 5-line block ×3, first 2 shown]

/* apply mask, calc new C and issue writes */
_buffer_store_b64 v[8:9], v6, s[sgprSrdD:sgprSrdD+3], 0, offen, offset:0,  nt // store D
_buffer_store_b64 v[10:11], v7, s[sgprSrdD:sgprSrdD+3], 0, offen, offset:0,  nt // store D
	;; [unrolled: 1-line block ×4, first 2 shown]
s_nop 0                                            // 1 wait state required when next inst writes vgprs held by previous dwordx4 store inst
/* optSingleColVgpr=0 optSharedColVgpr=0 optSGPRUsage=BufferLoad_Edge_Mask optSrdIncForRow=0 */
s_sleep 3 // optimization: sync and wait
s_barrier

/******************************************/
/* Global Write Alpha Edge Batch #18 (d1,d0,vc1,vc0) = */
/*    (4,0,2,0:vw1); (4,0,2,1:vw1); (4,1,2,0:vw1); (4,1,2,1:vw1) */
/******************************************/

/* calc coords, apply mask, and issue loads (if necessary) */
/* (d1,vc1,d0,vc0)=(4,2,0,0) */
_v_add_co_u32 v1, vcc, v1, 1                       // coord1.1: coord1Vgpr += d1*sg1*VW + vc1

/* Fix for UseInitialStridesCD, emitAddressSetupCode */
_v_add_u32 v2, v2, s[sgprStrideC1J]                // ROWINC- Move cinRowPtr to next row
_v_add_u32 v3, v3, s[sgprStrideD1J]                // Move coutRowPtr to next row
v_cmp_lt_u32 s[56:57], v0, s[sgprSizeI]            // coord0 < size0
v_cmp_lt_u32 s[60:61], v1, s[sgprSizeJ]            // coord1 < size1
s_and_b64 s[60:61], s[56:57], s[60:61]             // in0 && in1
_v_add_lshl_u32 v6, v3, v0, 0x3                    // scaleToBpe: accumulate d0 lower and *= bpe into Cin addr
v_cndmask_b32 v6, -1, v6, s[60:61]                 // LDD clip if OOB. offset
/* (d1,vc1,d0,vc0)=(4,2,0,1) */
_v_add_co_u32 v4, vcc, v0, 1                       // coord0.1: coord0 += d0*sg0*VW + vc0
v_cmp_lt_u32 s[56:57], v4, s[sgprSizeI]            // coord0 < size0
v_cmp_lt_u32 s[60:61], v1, s[sgprSizeJ]            // coord1 < size1
s_and_b64 s[60:61], s[56:57], s[60:61]             // in0 && in1
_v_add_lshl_u32 v7, v3, v4, 0x3                    // scaleToBpe: accumulate d0 lower and *= bpe into Cin addr
v_cndmask_b32 v7, -1, v7, s[60:61]                 // LDD clip if OOB. offset
/* (d1,vc1,d0,vc0)=(4,2,1,0) */
s_mov_b32 s56, 128                                 // coordOffset0 d0=1 vc0=0
_v_add_co_u32 v4, vcc, v0, s56                     // coord0.2: coord0 += d0*sg0*VW + vc0
v_cmp_lt_u32 s[56:57], v4, s[sgprSizeI]            // coord0 < size0
v_cmp_lt_u32 s[60:61], v1, s[sgprSizeJ]            // coord1 < size1
s_and_b64 s[60:61], s[56:57], s[60:61]             // in0 && in1
_v_add_lshl_u32 v12, v3, v4, 0x3                   // scaleToBpe: accumulate d0 lower and *= bpe into Cin addr
v_cndmask_b32 v12, -1, v12, s[60:61]               // LDD clip if OOB. offset
/* (d1,vc1,d0,vc0)=(4,2,1,1) */
s_mov_b32 s56, 129                                 // coordOffset0 d0=1 vc0=1
_v_add_co_u32 v4, vcc, v0, s56                     // coord0.2: coord0 += d0*sg0*VW + vc0
v_cmp_lt_u32 s[56:57], v4, s[sgprSizeI]            // coord0 < size0
v_cmp_lt_u32 s[60:61], v1, s[sgprSizeJ]            // coord1 < size1
s_and_b64 s[60:61], s[56:57], s[60:61]             // in0 && in1
_v_add_lshl_u32 v13, v3, v4, 0x3                   // scaleToBpe: accumulate d0 lower and *= bpe into Cin addr
v_cndmask_b32 v13, -1, v13, s[60:61]               // LDD clip if OOB. offset
v_accvgpr_read_b32 v[vgprValuC+8], acc66 // copy acc to vreg[144]
v_accvgpr_read_b32 v[vgprValuC+9], acc178 // copy acc to vreg[145]
v_accvgpr_read_b32 v[vgprValuC+10], acc70 // copy acc to vreg[146]
v_accvgpr_read_b32 v[vgprValuC+11], acc182 // copy acc to vreg[147]
v_accvgpr_read_b32 v[vgprValuC+14], acc74 // copy acc to vreg[148]
v_accvgpr_read_b32 v[vgprValuC+15], acc186 // copy acc to vreg[149]
v_accvgpr_read_b32 v[vgprValuC+16], acc78 // copy acc to vreg[150]
v_accvgpr_read_b32 v[vgprValuC+17], acc190 // copy acc to vreg[151]
s_nop 1                                            // 2 wait states required before reading vgpr

/* rC *= alpha batchElements=[(4, 0, 2, 0), (4, 0, 2, 1), (4, 1, 2, 0), (4, 1, 2, 1)] */
v_mov_b32 v18, v[vgprValuC+8]                      // store Cr
v_mul_f32 v[vgprValuC+8], s[sgprAlpha], v[vgprValuC+8] // *= alpha ( Cr = Ar * Cr)
_v_mac_f32 v[vgprValuC+8], -s[sgprAlpha+1], v[vgprValuC+9] // *= alpha ( Cr += -Ai * Ci )
v_mul_f32 v[vgprValuC+9], s[sgprAlpha], v[vgprValuC+9] // *= alpha ( Ci = Ar * Ci)
_v_mac_f32 v[vgprValuC+9], s[sgprAlpha+1], v18     // *= alpha ( Ci += Ai * Cr_backup )
v_mov_b32 v18, v[vgprValuC+10]                     // store Cr
v_mul_f32 v[vgprValuC+10], s[sgprAlpha], v[vgprValuC+10] // *= alpha ( Cr = Ar * Cr)
_v_mac_f32 v[vgprValuC+10], -s[sgprAlpha+1], v[vgprValuC+11] // *= alpha ( Cr += -Ai * Ci )
v_mul_f32 v[vgprValuC+11], s[sgprAlpha], v[vgprValuC+11] // *= alpha ( Ci = Ar * Ci)
_v_mac_f32 v[vgprValuC+11], s[sgprAlpha+1], v18    // *= alpha ( Ci += Ai * Cr_backup )
v_mov_b32 v18, v[vgprValuC+14]                     // store Cr
v_mul_f32 v[vgprValuC+14], s[sgprAlpha], v[vgprValuC+14] // *= alpha ( Cr = Ar * Cr)
_v_mac_f32 v[vgprValuC+14], -s[sgprAlpha+1], v[vgprValuC+15] // *= alpha ( Cr += -Ai * Ci )
v_mul_f32 v[vgprValuC+15], s[sgprAlpha], v[vgprValuC+15] // *= alpha ( Ci = Ar * Ci)
_v_mac_f32 v[vgprValuC+15], s[sgprAlpha+1], v18    // *= alpha ( Ci += Ai * Cr_backup )
	;; [unrolled: 5-line block ×3, first 2 shown]

/* apply mask, calc new C and issue writes */
_buffer_store_b64 v[8:9], v6, s[sgprSrdD:sgprSrdD+3], 0, offen, offset:0,  nt // store D
_buffer_store_b64 v[10:11], v7, s[sgprSrdD:sgprSrdD+3], 0, offen, offset:0,  nt // store D
	;; [unrolled: 1-line block ×4, first 2 shown]
s_nop 0                                            // 1 wait state required when next inst writes vgprs held by previous dwordx4 store inst
/* optSingleColVgpr=0 optSharedColVgpr=0 optSGPRUsage=BufferLoad_Edge_Mask optSrdIncForRow=0 */
s_sleep 3 // optimization: sync and wait
s_barrier

/******************************************/
/* Global Write Alpha Edge Batch #19 (d1,d0,vc1,vc0) = */
/*    (4,0,3,0:vw1); (4,0,3,1:vw1); (4,1,3,0:vw1); (4,1,3,1:vw1) */
/******************************************/

/* calc coords, apply mask, and issue loads (if necessary) */
/* (d1,vc1,d0,vc0)=(4,3,0,0) */
_v_add_co_u32 v1, vcc, v1, 1                       // coord1.1: coord1Vgpr += d1*sg1*VW + vc1

/* Fix for UseInitialStridesCD, emitAddressSetupCode */
_v_add_u32 v2, v2, s[sgprStrideC1J]                // ROWINC- Move cinRowPtr to next row
_v_add_u32 v3, v3, s[sgprStrideD1J]                // Move coutRowPtr to next row
v_cmp_lt_u32 s[56:57], v0, s[sgprSizeI]            // coord0 < size0
v_cmp_lt_u32 s[60:61], v1, s[sgprSizeJ]            // coord1 < size1
s_and_b64 s[60:61], s[56:57], s[60:61]             // in0 && in1
_v_add_lshl_u32 v6, v3, v0, 0x3                    // scaleToBpe: accumulate d0 lower and *= bpe into Cin addr
v_cndmask_b32 v6, -1, v6, s[60:61]                 // LDD clip if OOB. offset
/* (d1,vc1,d0,vc0)=(4,3,0,1) */
_v_add_co_u32 v4, vcc, v0, 1                       // coord0.1: coord0 += d0*sg0*VW + vc0
v_cmp_lt_u32 s[56:57], v4, s[sgprSizeI]            // coord0 < size0
v_cmp_lt_u32 s[60:61], v1, s[sgprSizeJ]            // coord1 < size1
s_and_b64 s[60:61], s[56:57], s[60:61]             // in0 && in1
_v_add_lshl_u32 v7, v3, v4, 0x3                    // scaleToBpe: accumulate d0 lower and *= bpe into Cin addr
v_cndmask_b32 v7, -1, v7, s[60:61]                 // LDD clip if OOB. offset
/* (d1,vc1,d0,vc0)=(4,3,1,0) */
s_mov_b32 s56, 128                                 // coordOffset0 d0=1 vc0=0
_v_add_co_u32 v4, vcc, v0, s56                     // coord0.2: coord0 += d0*sg0*VW + vc0
v_cmp_lt_u32 s[56:57], v4, s[sgprSizeI]            // coord0 < size0
v_cmp_lt_u32 s[60:61], v1, s[sgprSizeJ]            // coord1 < size1
s_and_b64 s[60:61], s[56:57], s[60:61]             // in0 && in1
_v_add_lshl_u32 v12, v3, v4, 0x3                   // scaleToBpe: accumulate d0 lower and *= bpe into Cin addr
v_cndmask_b32 v12, -1, v12, s[60:61]               // LDD clip if OOB. offset
/* (d1,vc1,d0,vc0)=(4,3,1,1) */
s_mov_b32 s56, 129                                 // coordOffset0 d0=1 vc0=1
_v_add_co_u32 v4, vcc, v0, s56                     // coord0.2: coord0 += d0*sg0*VW + vc0
v_cmp_lt_u32 s[56:57], v4, s[sgprSizeI]            // coord0 < size0
v_cmp_lt_u32 s[60:61], v1, s[sgprSizeJ]            // coord1 < size1
s_and_b64 s[60:61], s[56:57], s[60:61]             // in0 && in1
_v_add_lshl_u32 v13, v3, v4, 0x3                   // scaleToBpe: accumulate d0 lower and *= bpe into Cin addr
v_cndmask_b32 v13, -1, v13, s[60:61]               // LDD clip if OOB. offset
v_accvgpr_read_b32 v[vgprValuC+8], acc67 // copy acc to vreg[152]
v_accvgpr_read_b32 v[vgprValuC+9], acc179 // copy acc to vreg[153]
v_accvgpr_read_b32 v[vgprValuC+10], acc71 // copy acc to vreg[154]
v_accvgpr_read_b32 v[vgprValuC+11], acc183 // copy acc to vreg[155]
v_accvgpr_read_b32 v[vgprValuC+14], acc75 // copy acc to vreg[156]
v_accvgpr_read_b32 v[vgprValuC+15], acc187 // copy acc to vreg[157]
v_accvgpr_read_b32 v[vgprValuC+16], acc79 // copy acc to vreg[158]
v_accvgpr_read_b32 v[vgprValuC+17], acc191 // copy acc to vreg[159]
s_nop 1                                            // 2 wait states required before reading vgpr

/* rC *= alpha batchElements=[(4, 0, 3, 0), (4, 0, 3, 1), (4, 1, 3, 0), (4, 1, 3, 1)] */
v_mov_b32 v18, v[vgprValuC+8]                      // store Cr
v_mul_f32 v[vgprValuC+8], s[sgprAlpha], v[vgprValuC+8] // *= alpha ( Cr = Ar * Cr)
_v_mac_f32 v[vgprValuC+8], -s[sgprAlpha+1], v[vgprValuC+9] // *= alpha ( Cr += -Ai * Ci )
v_mul_f32 v[vgprValuC+9], s[sgprAlpha], v[vgprValuC+9] // *= alpha ( Ci = Ar * Ci)
_v_mac_f32 v[vgprValuC+9], s[sgprAlpha+1], v18     // *= alpha ( Ci += Ai * Cr_backup )
v_mov_b32 v18, v[vgprValuC+10]                     // store Cr
v_mul_f32 v[vgprValuC+10], s[sgprAlpha], v[vgprValuC+10] // *= alpha ( Cr = Ar * Cr)
_v_mac_f32 v[vgprValuC+10], -s[sgprAlpha+1], v[vgprValuC+11] // *= alpha ( Cr += -Ai * Ci )
v_mul_f32 v[vgprValuC+11], s[sgprAlpha], v[vgprValuC+11] // *= alpha ( Ci = Ar * Ci)
_v_mac_f32 v[vgprValuC+11], s[sgprAlpha+1], v18    // *= alpha ( Ci += Ai * Cr_backup )
v_mov_b32 v18, v[vgprValuC+14]                     // store Cr
v_mul_f32 v[vgprValuC+14], s[sgprAlpha], v[vgprValuC+14] // *= alpha ( Cr = Ar * Cr)
_v_mac_f32 v[vgprValuC+14], -s[sgprAlpha+1], v[vgprValuC+15] // *= alpha ( Cr += -Ai * Ci )
v_mul_f32 v[vgprValuC+15], s[sgprAlpha], v[vgprValuC+15] // *= alpha ( Ci = Ar * Ci)
_v_mac_f32 v[vgprValuC+15], s[sgprAlpha+1], v18    // *= alpha ( Ci += Ai * Cr_backup )
	;; [unrolled: 5-line block ×3, first 2 shown]

/* apply mask, calc new C and issue writes */
_buffer_store_b64 v[8:9], v6, s[sgprSrdD:sgprSrdD+3], 0, offen, offset:0,  nt // store D
_buffer_store_b64 v[10:11], v7, s[sgprSrdD:sgprSrdD+3], 0, offen, offset:0,  nt // store D
	;; [unrolled: 1-line block ×4, first 2 shown]
s_nop 0                                            // 1 wait state required when next inst writes vgprs held by previous dwordx4 store inst
/* optSingleColVgpr=0 optSharedColVgpr=0 optSGPRUsage=BufferLoad_Edge_Mask optSrdIncForRow=0 */
s_sleep 3 // optimization: sync and wait
s_barrier

/******************************************/
/* Global Write Alpha Edge Batch #20 (d1,d0,vc1,vc0) = */
/*    (5,0,0,0:vw1); (5,0,0,1:vw1); (5,1,0,0:vw1); (5,1,0,1:vw1) */
/******************************************/

/* calc coords, apply mask, and issue loads (if necessary) */
/* (d1,vc1,d0,vc0)=(5,0,0,0) */
_v_add_co_u32 v1, vcc, v1, 13                      // coord1.1: coord1Vgpr += d1*sg1*VW + vc1

/* Fix for UseInitialStridesCD, emitAddressSetupCode */
s_mul_i32 s56, s[sgprStrideC1J], 13                // scale stride
_v_add_u32 v2, v2, s56                             // ROWINC- Move cinRowPtr to next row
s_mul_i32 s56, s[sgprStrideD1J], 13                // scale stride
_v_add_u32 v3, v3, s56                             // Move coutRowPtr to next row
v_cmp_lt_u32 s[56:57], v0, s[sgprSizeI]            // coord0 < size0
v_cmp_lt_u32 s[60:61], v1, s[sgprSizeJ]            // coord1 < size1
s_and_b64 s[60:61], s[56:57], s[60:61]             // in0 && in1
_v_add_lshl_u32 v6, v3, v0, 0x3                    // scaleToBpe: accumulate d0 lower and *= bpe into Cin addr
v_cndmask_b32 v6, -1, v6, s[60:61]                 // LDD clip if OOB. offset
/* (d1,vc1,d0,vc0)=(5,0,0,1) */
_v_add_co_u32 v4, vcc, v0, 1                       // coord0.1: coord0 += d0*sg0*VW + vc0
v_cmp_lt_u32 s[56:57], v4, s[sgprSizeI]            // coord0 < size0
v_cmp_lt_u32 s[60:61], v1, s[sgprSizeJ]            // coord1 < size1
s_and_b64 s[60:61], s[56:57], s[60:61]             // in0 && in1
_v_add_lshl_u32 v7, v3, v4, 0x3                    // scaleToBpe: accumulate d0 lower and *= bpe into Cin addr
v_cndmask_b32 v7, -1, v7, s[60:61]                 // LDD clip if OOB. offset
/* (d1,vc1,d0,vc0)=(5,0,1,0) */
s_mov_b32 s56, 128                                 // coordOffset0 d0=1 vc0=0
_v_add_co_u32 v4, vcc, v0, s56                     // coord0.2: coord0 += d0*sg0*VW + vc0
v_cmp_lt_u32 s[56:57], v4, s[sgprSizeI]            // coord0 < size0
v_cmp_lt_u32 s[60:61], v1, s[sgprSizeJ]            // coord1 < size1
s_and_b64 s[60:61], s[56:57], s[60:61]             // in0 && in1
_v_add_lshl_u32 v12, v3, v4, 0x3                   // scaleToBpe: accumulate d0 lower and *= bpe into Cin addr
v_cndmask_b32 v12, -1, v12, s[60:61]               // LDD clip if OOB. offset
/* (d1,vc1,d0,vc0)=(5,0,1,1) */
s_mov_b32 s56, 129                                 // coordOffset0 d0=1 vc0=1
_v_add_co_u32 v4, vcc, v0, s56                     // coord0.2: coord0 += d0*sg0*VW + vc0
v_cmp_lt_u32 s[56:57], v4, s[sgprSizeI]            // coord0 < size0
v_cmp_lt_u32 s[60:61], v1, s[sgprSizeJ]            // coord1 < size1
s_and_b64 s[60:61], s[56:57], s[60:61]             // in0 && in1
_v_add_lshl_u32 v13, v3, v4, 0x3                   // scaleToBpe: accumulate d0 lower and *= bpe into Cin addr
v_cndmask_b32 v13, -1, v13, s[60:61]               // LDD clip if OOB. offset
v_accvgpr_read_b32 v[vgprValuC+8], acc80 // copy acc to vreg[160]
v_accvgpr_read_b32 v[vgprValuC+9], acc192 // copy acc to vreg[161]
v_accvgpr_read_b32 v[vgprValuC+10], acc84 // copy acc to vreg[162]
v_accvgpr_read_b32 v[vgprValuC+11], acc196 // copy acc to vreg[163]
v_accvgpr_read_b32 v[vgprValuC+14], acc88 // copy acc to vreg[164]
v_accvgpr_read_b32 v[vgprValuC+15], acc200 // copy acc to vreg[165]
v_accvgpr_read_b32 v[vgprValuC+16], acc92 // copy acc to vreg[166]
v_accvgpr_read_b32 v[vgprValuC+17], acc204 // copy acc to vreg[167]
s_nop 1                                            // 2 wait states required before reading vgpr

/* rC *= alpha batchElements=[(5, 0, 0, 0), (5, 0, 0, 1), (5, 1, 0, 0), (5, 1, 0, 1)] */
v_mov_b32 v18, v[vgprValuC+8]                      // store Cr
v_mul_f32 v[vgprValuC+8], s[sgprAlpha], v[vgprValuC+8] // *= alpha ( Cr = Ar * Cr)
_v_mac_f32 v[vgprValuC+8], -s[sgprAlpha+1], v[vgprValuC+9] // *= alpha ( Cr += -Ai * Ci )
v_mul_f32 v[vgprValuC+9], s[sgprAlpha], v[vgprValuC+9] // *= alpha ( Ci = Ar * Ci)
_v_mac_f32 v[vgprValuC+9], s[sgprAlpha+1], v18     // *= alpha ( Ci += Ai * Cr_backup )
v_mov_b32 v18, v[vgprValuC+10]                     // store Cr
v_mul_f32 v[vgprValuC+10], s[sgprAlpha], v[vgprValuC+10] // *= alpha ( Cr = Ar * Cr)
_v_mac_f32 v[vgprValuC+10], -s[sgprAlpha+1], v[vgprValuC+11] // *= alpha ( Cr += -Ai * Ci )
v_mul_f32 v[vgprValuC+11], s[sgprAlpha], v[vgprValuC+11] // *= alpha ( Ci = Ar * Ci)
_v_mac_f32 v[vgprValuC+11], s[sgprAlpha+1], v18    // *= alpha ( Ci += Ai * Cr_backup )
v_mov_b32 v18, v[vgprValuC+14]                     // store Cr
v_mul_f32 v[vgprValuC+14], s[sgprAlpha], v[vgprValuC+14] // *= alpha ( Cr = Ar * Cr)
_v_mac_f32 v[vgprValuC+14], -s[sgprAlpha+1], v[vgprValuC+15] // *= alpha ( Cr += -Ai * Ci )
v_mul_f32 v[vgprValuC+15], s[sgprAlpha], v[vgprValuC+15] // *= alpha ( Ci = Ar * Ci)
_v_mac_f32 v[vgprValuC+15], s[sgprAlpha+1], v18    // *= alpha ( Ci += Ai * Cr_backup )
	;; [unrolled: 5-line block ×3, first 2 shown]

/* apply mask, calc new C and issue writes */
_buffer_store_b64 v[8:9], v6, s[sgprSrdD:sgprSrdD+3], 0, offen, offset:0,  nt // store D
_buffer_store_b64 v[10:11], v7, s[sgprSrdD:sgprSrdD+3], 0, offen, offset:0,  nt // store D
	;; [unrolled: 1-line block ×4, first 2 shown]
s_nop 0                                            // 1 wait state required when next inst writes vgprs held by previous dwordx4 store inst
/* optSingleColVgpr=0 optSharedColVgpr=0 optSGPRUsage=BufferLoad_Edge_Mask optSrdIncForRow=0 */
s_sleep 3 // optimization: sync and wait
s_barrier

/******************************************/
/* Global Write Alpha Edge Batch #21 (d1,d0,vc1,vc0) = */
/*    (5,0,1,0:vw1); (5,0,1,1:vw1); (5,1,1,0:vw1); (5,1,1,1:vw1) */
/******************************************/

/* calc coords, apply mask, and issue loads (if necessary) */
/* (d1,vc1,d0,vc0)=(5,1,0,0) */
_v_add_co_u32 v1, vcc, v1, 1                       // coord1.1: coord1Vgpr += d1*sg1*VW + vc1

/* Fix for UseInitialStridesCD, emitAddressSetupCode */
_v_add_u32 v2, v2, s[sgprStrideC1J]                // ROWINC- Move cinRowPtr to next row
_v_add_u32 v3, v3, s[sgprStrideD1J]                // Move coutRowPtr to next row
v_cmp_lt_u32 s[56:57], v0, s[sgprSizeI]            // coord0 < size0
v_cmp_lt_u32 s[60:61], v1, s[sgprSizeJ]            // coord1 < size1
s_and_b64 s[60:61], s[56:57], s[60:61]             // in0 && in1
_v_add_lshl_u32 v6, v3, v0, 0x3                    // scaleToBpe: accumulate d0 lower and *= bpe into Cin addr
v_cndmask_b32 v6, -1, v6, s[60:61]                 // LDD clip if OOB. offset
/* (d1,vc1,d0,vc0)=(5,1,0,1) */
_v_add_co_u32 v4, vcc, v0, 1                       // coord0.1: coord0 += d0*sg0*VW + vc0
v_cmp_lt_u32 s[56:57], v4, s[sgprSizeI]            // coord0 < size0
v_cmp_lt_u32 s[60:61], v1, s[sgprSizeJ]            // coord1 < size1
s_and_b64 s[60:61], s[56:57], s[60:61]             // in0 && in1
_v_add_lshl_u32 v7, v3, v4, 0x3                    // scaleToBpe: accumulate d0 lower and *= bpe into Cin addr
v_cndmask_b32 v7, -1, v7, s[60:61]                 // LDD clip if OOB. offset
/* (d1,vc1,d0,vc0)=(5,1,1,0) */
s_mov_b32 s56, 128                                 // coordOffset0 d0=1 vc0=0
_v_add_co_u32 v4, vcc, v0, s56                     // coord0.2: coord0 += d0*sg0*VW + vc0
v_cmp_lt_u32 s[56:57], v4, s[sgprSizeI]            // coord0 < size0
v_cmp_lt_u32 s[60:61], v1, s[sgprSizeJ]            // coord1 < size1
s_and_b64 s[60:61], s[56:57], s[60:61]             // in0 && in1
_v_add_lshl_u32 v12, v3, v4, 0x3                   // scaleToBpe: accumulate d0 lower and *= bpe into Cin addr
v_cndmask_b32 v12, -1, v12, s[60:61]               // LDD clip if OOB. offset
/* (d1,vc1,d0,vc0)=(5,1,1,1) */
s_mov_b32 s56, 129                                 // coordOffset0 d0=1 vc0=1
_v_add_co_u32 v4, vcc, v0, s56                     // coord0.2: coord0 += d0*sg0*VW + vc0
v_cmp_lt_u32 s[56:57], v4, s[sgprSizeI]            // coord0 < size0
v_cmp_lt_u32 s[60:61], v1, s[sgprSizeJ]            // coord1 < size1
s_and_b64 s[60:61], s[56:57], s[60:61]             // in0 && in1
_v_add_lshl_u32 v13, v3, v4, 0x3                   // scaleToBpe: accumulate d0 lower and *= bpe into Cin addr
v_cndmask_b32 v13, -1, v13, s[60:61]               // LDD clip if OOB. offset
v_accvgpr_read_b32 v[vgprValuC+8], acc81 // copy acc to vreg[168]
v_accvgpr_read_b32 v[vgprValuC+9], acc193 // copy acc to vreg[169]
v_accvgpr_read_b32 v[vgprValuC+10], acc85 // copy acc to vreg[170]
v_accvgpr_read_b32 v[vgprValuC+11], acc197 // copy acc to vreg[171]
v_accvgpr_read_b32 v[vgprValuC+14], acc89 // copy acc to vreg[172]
v_accvgpr_read_b32 v[vgprValuC+15], acc201 // copy acc to vreg[173]
v_accvgpr_read_b32 v[vgprValuC+16], acc93 // copy acc to vreg[174]
v_accvgpr_read_b32 v[vgprValuC+17], acc205 // copy acc to vreg[175]
s_nop 1                                            // 2 wait states required before reading vgpr

/* rC *= alpha batchElements=[(5, 0, 1, 0), (5, 0, 1, 1), (5, 1, 1, 0), (5, 1, 1, 1)] */
v_mov_b32 v18, v[vgprValuC+8]                      // store Cr
v_mul_f32 v[vgprValuC+8], s[sgprAlpha], v[vgprValuC+8] // *= alpha ( Cr = Ar * Cr)
_v_mac_f32 v[vgprValuC+8], -s[sgprAlpha+1], v[vgprValuC+9] // *= alpha ( Cr += -Ai * Ci )
v_mul_f32 v[vgprValuC+9], s[sgprAlpha], v[vgprValuC+9] // *= alpha ( Ci = Ar * Ci)
_v_mac_f32 v[vgprValuC+9], s[sgprAlpha+1], v18     // *= alpha ( Ci += Ai * Cr_backup )
v_mov_b32 v18, v[vgprValuC+10]                     // store Cr
v_mul_f32 v[vgprValuC+10], s[sgprAlpha], v[vgprValuC+10] // *= alpha ( Cr = Ar * Cr)
_v_mac_f32 v[vgprValuC+10], -s[sgprAlpha+1], v[vgprValuC+11] // *= alpha ( Cr += -Ai * Ci )
v_mul_f32 v[vgprValuC+11], s[sgprAlpha], v[vgprValuC+11] // *= alpha ( Ci = Ar * Ci)
_v_mac_f32 v[vgprValuC+11], s[sgprAlpha+1], v18    // *= alpha ( Ci += Ai * Cr_backup )
v_mov_b32 v18, v[vgprValuC+14]                     // store Cr
v_mul_f32 v[vgprValuC+14], s[sgprAlpha], v[vgprValuC+14] // *= alpha ( Cr = Ar * Cr)
_v_mac_f32 v[vgprValuC+14], -s[sgprAlpha+1], v[vgprValuC+15] // *= alpha ( Cr += -Ai * Ci )
v_mul_f32 v[vgprValuC+15], s[sgprAlpha], v[vgprValuC+15] // *= alpha ( Ci = Ar * Ci)
_v_mac_f32 v[vgprValuC+15], s[sgprAlpha+1], v18    // *= alpha ( Ci += Ai * Cr_backup )
	;; [unrolled: 5-line block ×3, first 2 shown]

/* apply mask, calc new C and issue writes */
_buffer_store_b64 v[8:9], v6, s[sgprSrdD:sgprSrdD+3], 0, offen, offset:0,  nt // store D
_buffer_store_b64 v[10:11], v7, s[sgprSrdD:sgprSrdD+3], 0, offen, offset:0,  nt // store D
	;; [unrolled: 1-line block ×4, first 2 shown]
s_nop 0                                            // 1 wait state required when next inst writes vgprs held by previous dwordx4 store inst
/* optSingleColVgpr=0 optSharedColVgpr=0 optSGPRUsage=BufferLoad_Edge_Mask optSrdIncForRow=0 */
s_sleep 3 // optimization: sync and wait
s_barrier

/******************************************/
/* Global Write Alpha Edge Batch #22 (d1,d0,vc1,vc0) = */
/*    (5,0,2,0:vw1); (5,0,2,1:vw1); (5,1,2,0:vw1); (5,1,2,1:vw1) */
/******************************************/

/* calc coords, apply mask, and issue loads (if necessary) */
/* (d1,vc1,d0,vc0)=(5,2,0,0) */
_v_add_co_u32 v1, vcc, v1, 1                       // coord1.1: coord1Vgpr += d1*sg1*VW + vc1

/* Fix for UseInitialStridesCD, emitAddressSetupCode */
_v_add_u32 v2, v2, s[sgprStrideC1J]                // ROWINC- Move cinRowPtr to next row
_v_add_u32 v3, v3, s[sgprStrideD1J]                // Move coutRowPtr to next row
v_cmp_lt_u32 s[56:57], v0, s[sgprSizeI]            // coord0 < size0
v_cmp_lt_u32 s[60:61], v1, s[sgprSizeJ]            // coord1 < size1
s_and_b64 s[60:61], s[56:57], s[60:61]             // in0 && in1
_v_add_lshl_u32 v6, v3, v0, 0x3                    // scaleToBpe: accumulate d0 lower and *= bpe into Cin addr
v_cndmask_b32 v6, -1, v6, s[60:61]                 // LDD clip if OOB. offset
/* (d1,vc1,d0,vc0)=(5,2,0,1) */
_v_add_co_u32 v4, vcc, v0, 1                       // coord0.1: coord0 += d0*sg0*VW + vc0
v_cmp_lt_u32 s[56:57], v4, s[sgprSizeI]            // coord0 < size0
v_cmp_lt_u32 s[60:61], v1, s[sgprSizeJ]            // coord1 < size1
s_and_b64 s[60:61], s[56:57], s[60:61]             // in0 && in1
_v_add_lshl_u32 v7, v3, v4, 0x3                    // scaleToBpe: accumulate d0 lower and *= bpe into Cin addr
v_cndmask_b32 v7, -1, v7, s[60:61]                 // LDD clip if OOB. offset
/* (d1,vc1,d0,vc0)=(5,2,1,0) */
s_mov_b32 s56, 128                                 // coordOffset0 d0=1 vc0=0
_v_add_co_u32 v4, vcc, v0, s56                     // coord0.2: coord0 += d0*sg0*VW + vc0
v_cmp_lt_u32 s[56:57], v4, s[sgprSizeI]            // coord0 < size0
v_cmp_lt_u32 s[60:61], v1, s[sgprSizeJ]            // coord1 < size1
s_and_b64 s[60:61], s[56:57], s[60:61]             // in0 && in1
_v_add_lshl_u32 v12, v3, v4, 0x3                   // scaleToBpe: accumulate d0 lower and *= bpe into Cin addr
v_cndmask_b32 v12, -1, v12, s[60:61]               // LDD clip if OOB. offset
/* (d1,vc1,d0,vc0)=(5,2,1,1) */
s_mov_b32 s56, 129                                 // coordOffset0 d0=1 vc0=1
_v_add_co_u32 v4, vcc, v0, s56                     // coord0.2: coord0 += d0*sg0*VW + vc0
v_cmp_lt_u32 s[56:57], v4, s[sgprSizeI]            // coord0 < size0
v_cmp_lt_u32 s[60:61], v1, s[sgprSizeJ]            // coord1 < size1
s_and_b64 s[60:61], s[56:57], s[60:61]             // in0 && in1
_v_add_lshl_u32 v13, v3, v4, 0x3                   // scaleToBpe: accumulate d0 lower and *= bpe into Cin addr
v_cndmask_b32 v13, -1, v13, s[60:61]               // LDD clip if OOB. offset
v_accvgpr_read_b32 v[vgprValuC+8], acc82 // copy acc to vreg[176]
v_accvgpr_read_b32 v[vgprValuC+9], acc194 // copy acc to vreg[177]
v_accvgpr_read_b32 v[vgprValuC+10], acc86 // copy acc to vreg[178]
v_accvgpr_read_b32 v[vgprValuC+11], acc198 // copy acc to vreg[179]
v_accvgpr_read_b32 v[vgprValuC+14], acc90 // copy acc to vreg[180]
v_accvgpr_read_b32 v[vgprValuC+15], acc202 // copy acc to vreg[181]
v_accvgpr_read_b32 v[vgprValuC+16], acc94 // copy acc to vreg[182]
v_accvgpr_read_b32 v[vgprValuC+17], acc206 // copy acc to vreg[183]
s_nop 1                                            // 2 wait states required before reading vgpr

/* rC *= alpha batchElements=[(5, 0, 2, 0), (5, 0, 2, 1), (5, 1, 2, 0), (5, 1, 2, 1)] */
v_mov_b32 v18, v[vgprValuC+8]                      // store Cr
v_mul_f32 v[vgprValuC+8], s[sgprAlpha], v[vgprValuC+8] // *= alpha ( Cr = Ar * Cr)
_v_mac_f32 v[vgprValuC+8], -s[sgprAlpha+1], v[vgprValuC+9] // *= alpha ( Cr += -Ai * Ci )
v_mul_f32 v[vgprValuC+9], s[sgprAlpha], v[vgprValuC+9] // *= alpha ( Ci = Ar * Ci)
_v_mac_f32 v[vgprValuC+9], s[sgprAlpha+1], v18     // *= alpha ( Ci += Ai * Cr_backup )
v_mov_b32 v18, v[vgprValuC+10]                     // store Cr
v_mul_f32 v[vgprValuC+10], s[sgprAlpha], v[vgprValuC+10] // *= alpha ( Cr = Ar * Cr)
_v_mac_f32 v[vgprValuC+10], -s[sgprAlpha+1], v[vgprValuC+11] // *= alpha ( Cr += -Ai * Ci )
v_mul_f32 v[vgprValuC+11], s[sgprAlpha], v[vgprValuC+11] // *= alpha ( Ci = Ar * Ci)
_v_mac_f32 v[vgprValuC+11], s[sgprAlpha+1], v18    // *= alpha ( Ci += Ai * Cr_backup )
v_mov_b32 v18, v[vgprValuC+14]                     // store Cr
v_mul_f32 v[vgprValuC+14], s[sgprAlpha], v[vgprValuC+14] // *= alpha ( Cr = Ar * Cr)
_v_mac_f32 v[vgprValuC+14], -s[sgprAlpha+1], v[vgprValuC+15] // *= alpha ( Cr += -Ai * Ci )
v_mul_f32 v[vgprValuC+15], s[sgprAlpha], v[vgprValuC+15] // *= alpha ( Ci = Ar * Ci)
_v_mac_f32 v[vgprValuC+15], s[sgprAlpha+1], v18    // *= alpha ( Ci += Ai * Cr_backup )
	;; [unrolled: 5-line block ×3, first 2 shown]

/* apply mask, calc new C and issue writes */
_buffer_store_b64 v[8:9], v6, s[sgprSrdD:sgprSrdD+3], 0, offen, offset:0,  nt // store D
_buffer_store_b64 v[10:11], v7, s[sgprSrdD:sgprSrdD+3], 0, offen, offset:0,  nt // store D
	;; [unrolled: 1-line block ×4, first 2 shown]
s_nop 0                                            // 1 wait state required when next inst writes vgprs held by previous dwordx4 store inst
/* optSingleColVgpr=0 optSharedColVgpr=0 optSGPRUsage=BufferLoad_Edge_Mask optSrdIncForRow=0 */
s_sleep 3 // optimization: sync and wait
s_barrier

/******************************************/
/* Global Write Alpha Edge Batch #23 (d1,d0,vc1,vc0) = */
/*    (5,0,3,0:vw1); (5,0,3,1:vw1); (5,1,3,0:vw1); (5,1,3,1:vw1) */
/******************************************/

/* calc coords, apply mask, and issue loads (if necessary) */
/* (d1,vc1,d0,vc0)=(5,3,0,0) */
_v_add_co_u32 v1, vcc, v1, 1                       // coord1.1: coord1Vgpr += d1*sg1*VW + vc1

/* Fix for UseInitialStridesCD, emitAddressSetupCode */
_v_add_u32 v2, v2, s[sgprStrideC1J]                // ROWINC- Move cinRowPtr to next row
_v_add_u32 v3, v3, s[sgprStrideD1J]                // Move coutRowPtr to next row
v_cmp_lt_u32 s[56:57], v0, s[sgprSizeI]            // coord0 < size0
v_cmp_lt_u32 s[60:61], v1, s[sgprSizeJ]            // coord1 < size1
s_and_b64 s[60:61], s[56:57], s[60:61]             // in0 && in1
_v_add_lshl_u32 v6, v3, v0, 0x3                    // scaleToBpe: accumulate d0 lower and *= bpe into Cin addr
v_cndmask_b32 v6, -1, v6, s[60:61]                 // LDD clip if OOB. offset
/* (d1,vc1,d0,vc0)=(5,3,0,1) */
_v_add_co_u32 v4, vcc, v0, 1                       // coord0.1: coord0 += d0*sg0*VW + vc0
v_cmp_lt_u32 s[56:57], v4, s[sgprSizeI]            // coord0 < size0
v_cmp_lt_u32 s[60:61], v1, s[sgprSizeJ]            // coord1 < size1
s_and_b64 s[60:61], s[56:57], s[60:61]             // in0 && in1
_v_add_lshl_u32 v7, v3, v4, 0x3                    // scaleToBpe: accumulate d0 lower and *= bpe into Cin addr
v_cndmask_b32 v7, -1, v7, s[60:61]                 // LDD clip if OOB. offset
/* (d1,vc1,d0,vc0)=(5,3,1,0) */
s_mov_b32 s56, 128                                 // coordOffset0 d0=1 vc0=0
_v_add_co_u32 v4, vcc, v0, s56                     // coord0.2: coord0 += d0*sg0*VW + vc0
v_cmp_lt_u32 s[56:57], v4, s[sgprSizeI]            // coord0 < size0
v_cmp_lt_u32 s[60:61], v1, s[sgprSizeJ]            // coord1 < size1
s_and_b64 s[60:61], s[56:57], s[60:61]             // in0 && in1
_v_add_lshl_u32 v12, v3, v4, 0x3                   // scaleToBpe: accumulate d0 lower and *= bpe into Cin addr
v_cndmask_b32 v12, -1, v12, s[60:61]               // LDD clip if OOB. offset
/* (d1,vc1,d0,vc0)=(5,3,1,1) */
s_mov_b32 s56, 129                                 // coordOffset0 d0=1 vc0=1
_v_add_co_u32 v4, vcc, v0, s56                     // coord0.2: coord0 += d0*sg0*VW + vc0
v_cmp_lt_u32 s[56:57], v4, s[sgprSizeI]            // coord0 < size0
v_cmp_lt_u32 s[60:61], v1, s[sgprSizeJ]            // coord1 < size1
s_and_b64 s[60:61], s[56:57], s[60:61]             // in0 && in1
_v_add_lshl_u32 v13, v3, v4, 0x3                   // scaleToBpe: accumulate d0 lower and *= bpe into Cin addr
v_cndmask_b32 v13, -1, v13, s[60:61]               // LDD clip if OOB. offset
v_accvgpr_read_b32 v[vgprValuC+8], acc83 // copy acc to vreg[184]
v_accvgpr_read_b32 v[vgprValuC+9], acc195 // copy acc to vreg[185]
v_accvgpr_read_b32 v[vgprValuC+10], acc87 // copy acc to vreg[186]
v_accvgpr_read_b32 v[vgprValuC+11], acc199 // copy acc to vreg[187]
v_accvgpr_read_b32 v[vgprValuC+14], acc91 // copy acc to vreg[188]
v_accvgpr_read_b32 v[vgprValuC+15], acc203 // copy acc to vreg[189]
v_accvgpr_read_b32 v[vgprValuC+16], acc95 // copy acc to vreg[190]
v_accvgpr_read_b32 v[vgprValuC+17], acc207 // copy acc to vreg[191]
s_nop 1                                            // 2 wait states required before reading vgpr

/* rC *= alpha batchElements=[(5, 0, 3, 0), (5, 0, 3, 1), (5, 1, 3, 0), (5, 1, 3, 1)] */
v_mov_b32 v18, v[vgprValuC+8]                      // store Cr
v_mul_f32 v[vgprValuC+8], s[sgprAlpha], v[vgprValuC+8] // *= alpha ( Cr = Ar * Cr)
_v_mac_f32 v[vgprValuC+8], -s[sgprAlpha+1], v[vgprValuC+9] // *= alpha ( Cr += -Ai * Ci )
v_mul_f32 v[vgprValuC+9], s[sgprAlpha], v[vgprValuC+9] // *= alpha ( Ci = Ar * Ci)
_v_mac_f32 v[vgprValuC+9], s[sgprAlpha+1], v18     // *= alpha ( Ci += Ai * Cr_backup )
v_mov_b32 v18, v[vgprValuC+10]                     // store Cr
v_mul_f32 v[vgprValuC+10], s[sgprAlpha], v[vgprValuC+10] // *= alpha ( Cr = Ar * Cr)
_v_mac_f32 v[vgprValuC+10], -s[sgprAlpha+1], v[vgprValuC+11] // *= alpha ( Cr += -Ai * Ci )
v_mul_f32 v[vgprValuC+11], s[sgprAlpha], v[vgprValuC+11] // *= alpha ( Ci = Ar * Ci)
_v_mac_f32 v[vgprValuC+11], s[sgprAlpha+1], v18    // *= alpha ( Ci += Ai * Cr_backup )
v_mov_b32 v18, v[vgprValuC+14]                     // store Cr
v_mul_f32 v[vgprValuC+14], s[sgprAlpha], v[vgprValuC+14] // *= alpha ( Cr = Ar * Cr)
_v_mac_f32 v[vgprValuC+14], -s[sgprAlpha+1], v[vgprValuC+15] // *= alpha ( Cr += -Ai * Ci )
v_mul_f32 v[vgprValuC+15], s[sgprAlpha], v[vgprValuC+15] // *= alpha ( Ci = Ar * Ci)
_v_mac_f32 v[vgprValuC+15], s[sgprAlpha+1], v18    // *= alpha ( Ci += Ai * Cr_backup )
	;; [unrolled: 5-line block ×3, first 2 shown]

/* apply mask, calc new C and issue writes */
_buffer_store_b64 v[8:9], v6, s[sgprSrdD:sgprSrdD+3], 0, offen, offset:0,  nt // store D
_buffer_store_b64 v[10:11], v7, s[sgprSrdD:sgprSrdD+3], 0, offen, offset:0,  nt // store D
	;; [unrolled: 1-line block ×4, first 2 shown]
s_nop 0                                            // 1 wait state required when next inst writes vgprs held by previous dwordx4 store inst
/* optSingleColVgpr=0 optSharedColVgpr=0 optSGPRUsage=BufferLoad_Edge_Mask optSrdIncForRow=0 */
s_sleep 3 // optimization: sync and wait
s_barrier

/******************************************/
/* Global Write Alpha Edge Batch #24 (d1,d0,vc1,vc0) = */
/*    (6,0,0,0:vw1); (6,0,0,1:vw1); (6,1,0,0:vw1); (6,1,0,1:vw1) */
/******************************************/

/* calc coords, apply mask, and issue loads (if necessary) */
/* (d1,vc1,d0,vc0)=(6,0,0,0) */
_v_add_co_u32 v1, vcc, v1, 13                      // coord1.1: coord1Vgpr += d1*sg1*VW + vc1

/* Fix for UseInitialStridesCD, emitAddressSetupCode */
s_mul_i32 s56, s[sgprStrideC1J], 13                // scale stride
_v_add_u32 v2, v2, s56                             // ROWINC- Move cinRowPtr to next row
s_mul_i32 s56, s[sgprStrideD1J], 13                // scale stride
_v_add_u32 v3, v3, s56                             // Move coutRowPtr to next row
v_cmp_lt_u32 s[56:57], v0, s[sgprSizeI]            // coord0 < size0
v_cmp_lt_u32 s[60:61], v1, s[sgprSizeJ]            // coord1 < size1
s_and_b64 s[60:61], s[56:57], s[60:61]             // in0 && in1
_v_add_lshl_u32 v6, v3, v0, 0x3                    // scaleToBpe: accumulate d0 lower and *= bpe into Cin addr
v_cndmask_b32 v6, -1, v6, s[60:61]                 // LDD clip if OOB. offset
/* (d1,vc1,d0,vc0)=(6,0,0,1) */
_v_add_co_u32 v4, vcc, v0, 1                       // coord0.1: coord0 += d0*sg0*VW + vc0
v_cmp_lt_u32 s[56:57], v4, s[sgprSizeI]            // coord0 < size0
v_cmp_lt_u32 s[60:61], v1, s[sgprSizeJ]            // coord1 < size1
s_and_b64 s[60:61], s[56:57], s[60:61]             // in0 && in1
_v_add_lshl_u32 v7, v3, v4, 0x3                    // scaleToBpe: accumulate d0 lower and *= bpe into Cin addr
v_cndmask_b32 v7, -1, v7, s[60:61]                 // LDD clip if OOB. offset
/* (d1,vc1,d0,vc0)=(6,0,1,0) */
s_mov_b32 s56, 128                                 // coordOffset0 d0=1 vc0=0
_v_add_co_u32 v4, vcc, v0, s56                     // coord0.2: coord0 += d0*sg0*VW + vc0
v_cmp_lt_u32 s[56:57], v4, s[sgprSizeI]            // coord0 < size0
v_cmp_lt_u32 s[60:61], v1, s[sgprSizeJ]            // coord1 < size1
s_and_b64 s[60:61], s[56:57], s[60:61]             // in0 && in1
_v_add_lshl_u32 v12, v3, v4, 0x3                   // scaleToBpe: accumulate d0 lower and *= bpe into Cin addr
v_cndmask_b32 v12, -1, v12, s[60:61]               // LDD clip if OOB. offset
/* (d1,vc1,d0,vc0)=(6,0,1,1) */
s_mov_b32 s56, 129                                 // coordOffset0 d0=1 vc0=1
_v_add_co_u32 v4, vcc, v0, s56                     // coord0.2: coord0 += d0*sg0*VW + vc0
v_cmp_lt_u32 s[56:57], v4, s[sgprSizeI]            // coord0 < size0
v_cmp_lt_u32 s[60:61], v1, s[sgprSizeJ]            // coord1 < size1
s_and_b64 s[60:61], s[56:57], s[60:61]             // in0 && in1
_v_add_lshl_u32 v13, v3, v4, 0x3                   // scaleToBpe: accumulate d0 lower and *= bpe into Cin addr
v_cndmask_b32 v13, -1, v13, s[60:61]               // LDD clip if OOB. offset
v_accvgpr_read_b32 v[vgprValuC+8], acc96 // copy acc to vreg[192]
v_accvgpr_read_b32 v[vgprValuC+9], acc208 // copy acc to vreg[193]
v_accvgpr_read_b32 v[vgprValuC+10], acc100 // copy acc to vreg[194]
v_accvgpr_read_b32 v[vgprValuC+11], acc212 // copy acc to vreg[195]
v_accvgpr_read_b32 v[vgprValuC+14], acc104 // copy acc to vreg[196]
v_accvgpr_read_b32 v[vgprValuC+15], acc216 // copy acc to vreg[197]
v_accvgpr_read_b32 v[vgprValuC+16], acc108 // copy acc to vreg[198]
v_accvgpr_read_b32 v[vgprValuC+17], acc220 // copy acc to vreg[199]
s_nop 1                                            // 2 wait states required before reading vgpr

/* rC *= alpha batchElements=[(6, 0, 0, 0), (6, 0, 0, 1), (6, 1, 0, 0), (6, 1, 0, 1)] */
v_mov_b32 v18, v[vgprValuC+8]                      // store Cr
v_mul_f32 v[vgprValuC+8], s[sgprAlpha], v[vgprValuC+8] // *= alpha ( Cr = Ar * Cr)
_v_mac_f32 v[vgprValuC+8], -s[sgprAlpha+1], v[vgprValuC+9] // *= alpha ( Cr += -Ai * Ci )
v_mul_f32 v[vgprValuC+9], s[sgprAlpha], v[vgprValuC+9] // *= alpha ( Ci = Ar * Ci)
_v_mac_f32 v[vgprValuC+9], s[sgprAlpha+1], v18     // *= alpha ( Ci += Ai * Cr_backup )
v_mov_b32 v18, v[vgprValuC+10]                     // store Cr
v_mul_f32 v[vgprValuC+10], s[sgprAlpha], v[vgprValuC+10] // *= alpha ( Cr = Ar * Cr)
_v_mac_f32 v[vgprValuC+10], -s[sgprAlpha+1], v[vgprValuC+11] // *= alpha ( Cr += -Ai * Ci )
v_mul_f32 v[vgprValuC+11], s[sgprAlpha], v[vgprValuC+11] // *= alpha ( Ci = Ar * Ci)
_v_mac_f32 v[vgprValuC+11], s[sgprAlpha+1], v18    // *= alpha ( Ci += Ai * Cr_backup )
v_mov_b32 v18, v[vgprValuC+14]                     // store Cr
v_mul_f32 v[vgprValuC+14], s[sgprAlpha], v[vgprValuC+14] // *= alpha ( Cr = Ar * Cr)
_v_mac_f32 v[vgprValuC+14], -s[sgprAlpha+1], v[vgprValuC+15] // *= alpha ( Cr += -Ai * Ci )
v_mul_f32 v[vgprValuC+15], s[sgprAlpha], v[vgprValuC+15] // *= alpha ( Ci = Ar * Ci)
_v_mac_f32 v[vgprValuC+15], s[sgprAlpha+1], v18    // *= alpha ( Ci += Ai * Cr_backup )
	;; [unrolled: 5-line block ×3, first 2 shown]

/* apply mask, calc new C and issue writes */
_buffer_store_b64 v[8:9], v6, s[sgprSrdD:sgprSrdD+3], 0, offen, offset:0,  nt // store D
_buffer_store_b64 v[10:11], v7, s[sgprSrdD:sgprSrdD+3], 0, offen, offset:0,  nt // store D
	;; [unrolled: 1-line block ×4, first 2 shown]
s_nop 0                                            // 1 wait state required when next inst writes vgprs held by previous dwordx4 store inst
/* optSingleColVgpr=0 optSharedColVgpr=0 optSGPRUsage=BufferLoad_Edge_Mask optSrdIncForRow=0 */
s_sleep 3 // optimization: sync and wait
s_barrier

/******************************************/
/* Global Write Alpha Edge Batch #25 (d1,d0,vc1,vc0) = */
/*    (6,0,1,0:vw1); (6,0,1,1:vw1); (6,1,1,0:vw1); (6,1,1,1:vw1) */
/******************************************/

/* calc coords, apply mask, and issue loads (if necessary) */
/* (d1,vc1,d0,vc0)=(6,1,0,0) */
_v_add_co_u32 v1, vcc, v1, 1                       // coord1.1: coord1Vgpr += d1*sg1*VW + vc1

/* Fix for UseInitialStridesCD, emitAddressSetupCode */
_v_add_u32 v2, v2, s[sgprStrideC1J]                // ROWINC- Move cinRowPtr to next row
_v_add_u32 v3, v3, s[sgprStrideD1J]                // Move coutRowPtr to next row
v_cmp_lt_u32 s[56:57], v0, s[sgprSizeI]            // coord0 < size0
v_cmp_lt_u32 s[60:61], v1, s[sgprSizeJ]            // coord1 < size1
s_and_b64 s[60:61], s[56:57], s[60:61]             // in0 && in1
_v_add_lshl_u32 v6, v3, v0, 0x3                    // scaleToBpe: accumulate d0 lower and *= bpe into Cin addr
v_cndmask_b32 v6, -1, v6, s[60:61]                 // LDD clip if OOB. offset
/* (d1,vc1,d0,vc0)=(6,1,0,1) */
_v_add_co_u32 v4, vcc, v0, 1                       // coord0.1: coord0 += d0*sg0*VW + vc0
v_cmp_lt_u32 s[56:57], v4, s[sgprSizeI]            // coord0 < size0
v_cmp_lt_u32 s[60:61], v1, s[sgprSizeJ]            // coord1 < size1
s_and_b64 s[60:61], s[56:57], s[60:61]             // in0 && in1
_v_add_lshl_u32 v7, v3, v4, 0x3                    // scaleToBpe: accumulate d0 lower and *= bpe into Cin addr
v_cndmask_b32 v7, -1, v7, s[60:61]                 // LDD clip if OOB. offset
/* (d1,vc1,d0,vc0)=(6,1,1,0) */
s_mov_b32 s56, 128                                 // coordOffset0 d0=1 vc0=0
_v_add_co_u32 v4, vcc, v0, s56                     // coord0.2: coord0 += d0*sg0*VW + vc0
v_cmp_lt_u32 s[56:57], v4, s[sgprSizeI]            // coord0 < size0
v_cmp_lt_u32 s[60:61], v1, s[sgprSizeJ]            // coord1 < size1
s_and_b64 s[60:61], s[56:57], s[60:61]             // in0 && in1
_v_add_lshl_u32 v12, v3, v4, 0x3                   // scaleToBpe: accumulate d0 lower and *= bpe into Cin addr
v_cndmask_b32 v12, -1, v12, s[60:61]               // LDD clip if OOB. offset
/* (d1,vc1,d0,vc0)=(6,1,1,1) */
s_mov_b32 s56, 129                                 // coordOffset0 d0=1 vc0=1
_v_add_co_u32 v4, vcc, v0, s56                     // coord0.2: coord0 += d0*sg0*VW + vc0
v_cmp_lt_u32 s[56:57], v4, s[sgprSizeI]            // coord0 < size0
v_cmp_lt_u32 s[60:61], v1, s[sgprSizeJ]            // coord1 < size1
s_and_b64 s[60:61], s[56:57], s[60:61]             // in0 && in1
_v_add_lshl_u32 v13, v3, v4, 0x3                   // scaleToBpe: accumulate d0 lower and *= bpe into Cin addr
v_cndmask_b32 v13, -1, v13, s[60:61]               // LDD clip if OOB. offset
v_accvgpr_read_b32 v[vgprValuC+8], acc97 // copy acc to vreg[200]
v_accvgpr_read_b32 v[vgprValuC+9], acc209 // copy acc to vreg[201]
v_accvgpr_read_b32 v[vgprValuC+10], acc101 // copy acc to vreg[202]
v_accvgpr_read_b32 v[vgprValuC+11], acc213 // copy acc to vreg[203]
v_accvgpr_read_b32 v[vgprValuC+14], acc105 // copy acc to vreg[204]
v_accvgpr_read_b32 v[vgprValuC+15], acc217 // copy acc to vreg[205]
v_accvgpr_read_b32 v[vgprValuC+16], acc109 // copy acc to vreg[206]
v_accvgpr_read_b32 v[vgprValuC+17], acc221 // copy acc to vreg[207]
s_nop 1                                            // 2 wait states required before reading vgpr

/* rC *= alpha batchElements=[(6, 0, 1, 0), (6, 0, 1, 1), (6, 1, 1, 0), (6, 1, 1, 1)] */
v_mov_b32 v18, v[vgprValuC+8]                      // store Cr
v_mul_f32 v[vgprValuC+8], s[sgprAlpha], v[vgprValuC+8] // *= alpha ( Cr = Ar * Cr)
_v_mac_f32 v[vgprValuC+8], -s[sgprAlpha+1], v[vgprValuC+9] // *= alpha ( Cr += -Ai * Ci )
v_mul_f32 v[vgprValuC+9], s[sgprAlpha], v[vgprValuC+9] // *= alpha ( Ci = Ar * Ci)
_v_mac_f32 v[vgprValuC+9], s[sgprAlpha+1], v18     // *= alpha ( Ci += Ai * Cr_backup )
v_mov_b32 v18, v[vgprValuC+10]                     // store Cr
v_mul_f32 v[vgprValuC+10], s[sgprAlpha], v[vgprValuC+10] // *= alpha ( Cr = Ar * Cr)
_v_mac_f32 v[vgprValuC+10], -s[sgprAlpha+1], v[vgprValuC+11] // *= alpha ( Cr += -Ai * Ci )
v_mul_f32 v[vgprValuC+11], s[sgprAlpha], v[vgprValuC+11] // *= alpha ( Ci = Ar * Ci)
_v_mac_f32 v[vgprValuC+11], s[sgprAlpha+1], v18    // *= alpha ( Ci += Ai * Cr_backup )
v_mov_b32 v18, v[vgprValuC+14]                     // store Cr
v_mul_f32 v[vgprValuC+14], s[sgprAlpha], v[vgprValuC+14] // *= alpha ( Cr = Ar * Cr)
_v_mac_f32 v[vgprValuC+14], -s[sgprAlpha+1], v[vgprValuC+15] // *= alpha ( Cr += -Ai * Ci )
v_mul_f32 v[vgprValuC+15], s[sgprAlpha], v[vgprValuC+15] // *= alpha ( Ci = Ar * Ci)
_v_mac_f32 v[vgprValuC+15], s[sgprAlpha+1], v18    // *= alpha ( Ci += Ai * Cr_backup )
	;; [unrolled: 5-line block ×3, first 2 shown]

/* apply mask, calc new C and issue writes */
_buffer_store_b64 v[8:9], v6, s[sgprSrdD:sgprSrdD+3], 0, offen, offset:0,  nt // store D
_buffer_store_b64 v[10:11], v7, s[sgprSrdD:sgprSrdD+3], 0, offen, offset:0,  nt // store D
	;; [unrolled: 1-line block ×4, first 2 shown]
s_nop 0                                            // 1 wait state required when next inst writes vgprs held by previous dwordx4 store inst
/* optSingleColVgpr=0 optSharedColVgpr=0 optSGPRUsage=BufferLoad_Edge_Mask optSrdIncForRow=0 */
s_sleep 3 // optimization: sync and wait
s_barrier

/******************************************/
/* Global Write Alpha Edge Batch #26 (d1,d0,vc1,vc0) = */
/*    (6,0,2,0:vw1); (6,0,2,1:vw1); (6,1,2,0:vw1); (6,1,2,1:vw1) */
/******************************************/

/* calc coords, apply mask, and issue loads (if necessary) */
/* (d1,vc1,d0,vc0)=(6,2,0,0) */
_v_add_co_u32 v1, vcc, v1, 1                       // coord1.1: coord1Vgpr += d1*sg1*VW + vc1

/* Fix for UseInitialStridesCD, emitAddressSetupCode */
_v_add_u32 v2, v2, s[sgprStrideC1J]                // ROWINC- Move cinRowPtr to next row
_v_add_u32 v3, v3, s[sgprStrideD1J]                // Move coutRowPtr to next row
v_cmp_lt_u32 s[56:57], v0, s[sgprSizeI]            // coord0 < size0
v_cmp_lt_u32 s[60:61], v1, s[sgprSizeJ]            // coord1 < size1
s_and_b64 s[60:61], s[56:57], s[60:61]             // in0 && in1
_v_add_lshl_u32 v6, v3, v0, 0x3                    // scaleToBpe: accumulate d0 lower and *= bpe into Cin addr
v_cndmask_b32 v6, -1, v6, s[60:61]                 // LDD clip if OOB. offset
/* (d1,vc1,d0,vc0)=(6,2,0,1) */
_v_add_co_u32 v4, vcc, v0, 1                       // coord0.1: coord0 += d0*sg0*VW + vc0
v_cmp_lt_u32 s[56:57], v4, s[sgprSizeI]            // coord0 < size0
v_cmp_lt_u32 s[60:61], v1, s[sgprSizeJ]            // coord1 < size1
s_and_b64 s[60:61], s[56:57], s[60:61]             // in0 && in1
_v_add_lshl_u32 v7, v3, v4, 0x3                    // scaleToBpe: accumulate d0 lower and *= bpe into Cin addr
v_cndmask_b32 v7, -1, v7, s[60:61]                 // LDD clip if OOB. offset
/* (d1,vc1,d0,vc0)=(6,2,1,0) */
s_mov_b32 s56, 128                                 // coordOffset0 d0=1 vc0=0
_v_add_co_u32 v4, vcc, v0, s56                     // coord0.2: coord0 += d0*sg0*VW + vc0
v_cmp_lt_u32 s[56:57], v4, s[sgprSizeI]            // coord0 < size0
v_cmp_lt_u32 s[60:61], v1, s[sgprSizeJ]            // coord1 < size1
s_and_b64 s[60:61], s[56:57], s[60:61]             // in0 && in1
_v_add_lshl_u32 v12, v3, v4, 0x3                   // scaleToBpe: accumulate d0 lower and *= bpe into Cin addr
v_cndmask_b32 v12, -1, v12, s[60:61]               // LDD clip if OOB. offset
/* (d1,vc1,d0,vc0)=(6,2,1,1) */
s_mov_b32 s56, 129                                 // coordOffset0 d0=1 vc0=1
_v_add_co_u32 v4, vcc, v0, s56                     // coord0.2: coord0 += d0*sg0*VW + vc0
v_cmp_lt_u32 s[56:57], v4, s[sgprSizeI]            // coord0 < size0
v_cmp_lt_u32 s[60:61], v1, s[sgprSizeJ]            // coord1 < size1
s_and_b64 s[60:61], s[56:57], s[60:61]             // in0 && in1
_v_add_lshl_u32 v13, v3, v4, 0x3                   // scaleToBpe: accumulate d0 lower and *= bpe into Cin addr
v_cndmask_b32 v13, -1, v13, s[60:61]               // LDD clip if OOB. offset
v_accvgpr_read_b32 v[vgprValuC+8], acc98 // copy acc to vreg[208]
v_accvgpr_read_b32 v[vgprValuC+9], acc210 // copy acc to vreg[209]
v_accvgpr_read_b32 v[vgprValuC+10], acc102 // copy acc to vreg[210]
v_accvgpr_read_b32 v[vgprValuC+11], acc214 // copy acc to vreg[211]
v_accvgpr_read_b32 v[vgprValuC+14], acc106 // copy acc to vreg[212]
v_accvgpr_read_b32 v[vgprValuC+15], acc218 // copy acc to vreg[213]
v_accvgpr_read_b32 v[vgprValuC+16], acc110 // copy acc to vreg[214]
v_accvgpr_read_b32 v[vgprValuC+17], acc222 // copy acc to vreg[215]
s_nop 1                                            // 2 wait states required before reading vgpr

/* rC *= alpha batchElements=[(6, 0, 2, 0), (6, 0, 2, 1), (6, 1, 2, 0), (6, 1, 2, 1)] */
v_mov_b32 v18, v[vgprValuC+8]                      // store Cr
v_mul_f32 v[vgprValuC+8], s[sgprAlpha], v[vgprValuC+8] // *= alpha ( Cr = Ar * Cr)
_v_mac_f32 v[vgprValuC+8], -s[sgprAlpha+1], v[vgprValuC+9] // *= alpha ( Cr += -Ai * Ci )
v_mul_f32 v[vgprValuC+9], s[sgprAlpha], v[vgprValuC+9] // *= alpha ( Ci = Ar * Ci)
_v_mac_f32 v[vgprValuC+9], s[sgprAlpha+1], v18     // *= alpha ( Ci += Ai * Cr_backup )
v_mov_b32 v18, v[vgprValuC+10]                     // store Cr
v_mul_f32 v[vgprValuC+10], s[sgprAlpha], v[vgprValuC+10] // *= alpha ( Cr = Ar * Cr)
_v_mac_f32 v[vgprValuC+10], -s[sgprAlpha+1], v[vgprValuC+11] // *= alpha ( Cr += -Ai * Ci )
v_mul_f32 v[vgprValuC+11], s[sgprAlpha], v[vgprValuC+11] // *= alpha ( Ci = Ar * Ci)
_v_mac_f32 v[vgprValuC+11], s[sgprAlpha+1], v18    // *= alpha ( Ci += Ai * Cr_backup )
v_mov_b32 v18, v[vgprValuC+14]                     // store Cr
v_mul_f32 v[vgprValuC+14], s[sgprAlpha], v[vgprValuC+14] // *= alpha ( Cr = Ar * Cr)
_v_mac_f32 v[vgprValuC+14], -s[sgprAlpha+1], v[vgprValuC+15] // *= alpha ( Cr += -Ai * Ci )
v_mul_f32 v[vgprValuC+15], s[sgprAlpha], v[vgprValuC+15] // *= alpha ( Ci = Ar * Ci)
_v_mac_f32 v[vgprValuC+15], s[sgprAlpha+1], v18    // *= alpha ( Ci += Ai * Cr_backup )
	;; [unrolled: 5-line block ×3, first 2 shown]

/* apply mask, calc new C and issue writes */
_buffer_store_b64 v[8:9], v6, s[sgprSrdD:sgprSrdD+3], 0, offen, offset:0,  nt // store D
_buffer_store_b64 v[10:11], v7, s[sgprSrdD:sgprSrdD+3], 0, offen, offset:0,  nt // store D
	;; [unrolled: 1-line block ×4, first 2 shown]
s_nop 0                                            // 1 wait state required when next inst writes vgprs held by previous dwordx4 store inst
/* optSingleColVgpr=0 optSharedColVgpr=0 optSGPRUsage=BufferLoad_Edge_Mask optSrdIncForRow=0 */
s_sleep 3 // optimization: sync and wait
s_barrier

/******************************************/
/* Global Write Alpha Edge Batch #27 (d1,d0,vc1,vc0) = */
/*    (6,0,3,0:vw1); (6,0,3,1:vw1); (6,1,3,0:vw1); (6,1,3,1:vw1) */
/******************************************/

/* calc coords, apply mask, and issue loads (if necessary) */
/* (d1,vc1,d0,vc0)=(6,3,0,0) */
_v_add_co_u32 v1, vcc, v1, 1                       // coord1.1: coord1Vgpr += d1*sg1*VW + vc1

/* Fix for UseInitialStridesCD, emitAddressSetupCode */
_v_add_u32 v2, v2, s[sgprStrideC1J]                // ROWINC- Move cinRowPtr to next row
_v_add_u32 v3, v3, s[sgprStrideD1J]                // Move coutRowPtr to next row
v_cmp_lt_u32 s[56:57], v0, s[sgprSizeI]            // coord0 < size0
v_cmp_lt_u32 s[60:61], v1, s[sgprSizeJ]            // coord1 < size1
s_and_b64 s[60:61], s[56:57], s[60:61]             // in0 && in1
_v_add_lshl_u32 v6, v3, v0, 0x3                    // scaleToBpe: accumulate d0 lower and *= bpe into Cin addr
v_cndmask_b32 v6, -1, v6, s[60:61]                 // LDD clip if OOB. offset
/* (d1,vc1,d0,vc0)=(6,3,0,1) */
_v_add_co_u32 v4, vcc, v0, 1                       // coord0.1: coord0 += d0*sg0*VW + vc0
v_cmp_lt_u32 s[56:57], v4, s[sgprSizeI]            // coord0 < size0
v_cmp_lt_u32 s[60:61], v1, s[sgprSizeJ]            // coord1 < size1
s_and_b64 s[60:61], s[56:57], s[60:61]             // in0 && in1
_v_add_lshl_u32 v7, v3, v4, 0x3                    // scaleToBpe: accumulate d0 lower and *= bpe into Cin addr
v_cndmask_b32 v7, -1, v7, s[60:61]                 // LDD clip if OOB. offset
/* (d1,vc1,d0,vc0)=(6,3,1,0) */
s_mov_b32 s56, 128                                 // coordOffset0 d0=1 vc0=0
_v_add_co_u32 v4, vcc, v0, s56                     // coord0.2: coord0 += d0*sg0*VW + vc0
v_cmp_lt_u32 s[56:57], v4, s[sgprSizeI]            // coord0 < size0
v_cmp_lt_u32 s[60:61], v1, s[sgprSizeJ]            // coord1 < size1
s_and_b64 s[60:61], s[56:57], s[60:61]             // in0 && in1
_v_add_lshl_u32 v12, v3, v4, 0x3                   // scaleToBpe: accumulate d0 lower and *= bpe into Cin addr
v_cndmask_b32 v12, -1, v12, s[60:61]               // LDD clip if OOB. offset
/* (d1,vc1,d0,vc0)=(6,3,1,1) */
s_mov_b32 s56, 129                                 // coordOffset0 d0=1 vc0=1
_v_add_co_u32 v4, vcc, v0, s56                     // coord0.2: coord0 += d0*sg0*VW + vc0
v_cmp_lt_u32 s[56:57], v4, s[sgprSizeI]            // coord0 < size0
v_cmp_lt_u32 s[60:61], v1, s[sgprSizeJ]            // coord1 < size1
s_and_b64 s[60:61], s[56:57], s[60:61]             // in0 && in1
_v_add_lshl_u32 v13, v3, v4, 0x3                   // scaleToBpe: accumulate d0 lower and *= bpe into Cin addr
v_cndmask_b32 v13, -1, v13, s[60:61]               // LDD clip if OOB. offset
v_accvgpr_read_b32 v[vgprValuC+8], acc99 // copy acc to vreg[216]
v_accvgpr_read_b32 v[vgprValuC+9], acc211 // copy acc to vreg[217]
v_accvgpr_read_b32 v[vgprValuC+10], acc103 // copy acc to vreg[218]
v_accvgpr_read_b32 v[vgprValuC+11], acc215 // copy acc to vreg[219]
v_accvgpr_read_b32 v[vgprValuC+14], acc107 // copy acc to vreg[220]
v_accvgpr_read_b32 v[vgprValuC+15], acc219 // copy acc to vreg[221]
v_accvgpr_read_b32 v[vgprValuC+16], acc111 // copy acc to vreg[222]
v_accvgpr_read_b32 v[vgprValuC+17], acc223 // copy acc to vreg[223]
s_nop 1                                            // 2 wait states required before reading vgpr

/* rC *= alpha batchElements=[(6, 0, 3, 0), (6, 0, 3, 1), (6, 1, 3, 0), (6, 1, 3, 1)] */
v_mov_b32 v18, v[vgprValuC+8]                      // store Cr
v_mul_f32 v[vgprValuC+8], s[sgprAlpha], v[vgprValuC+8] // *= alpha ( Cr = Ar * Cr)
_v_mac_f32 v[vgprValuC+8], -s[sgprAlpha+1], v[vgprValuC+9] // *= alpha ( Cr += -Ai * Ci )
v_mul_f32 v[vgprValuC+9], s[sgprAlpha], v[vgprValuC+9] // *= alpha ( Ci = Ar * Ci)
_v_mac_f32 v[vgprValuC+9], s[sgprAlpha+1], v18     // *= alpha ( Ci += Ai * Cr_backup )
v_mov_b32 v18, v[vgprValuC+10]                     // store Cr
v_mul_f32 v[vgprValuC+10], s[sgprAlpha], v[vgprValuC+10] // *= alpha ( Cr = Ar * Cr)
_v_mac_f32 v[vgprValuC+10], -s[sgprAlpha+1], v[vgprValuC+11] // *= alpha ( Cr += -Ai * Ci )
v_mul_f32 v[vgprValuC+11], s[sgprAlpha], v[vgprValuC+11] // *= alpha ( Ci = Ar * Ci)
_v_mac_f32 v[vgprValuC+11], s[sgprAlpha+1], v18    // *= alpha ( Ci += Ai * Cr_backup )
v_mov_b32 v18, v[vgprValuC+14]                     // store Cr
v_mul_f32 v[vgprValuC+14], s[sgprAlpha], v[vgprValuC+14] // *= alpha ( Cr = Ar * Cr)
_v_mac_f32 v[vgprValuC+14], -s[sgprAlpha+1], v[vgprValuC+15] // *= alpha ( Cr += -Ai * Ci )
v_mul_f32 v[vgprValuC+15], s[sgprAlpha], v[vgprValuC+15] // *= alpha ( Ci = Ar * Ci)
_v_mac_f32 v[vgprValuC+15], s[sgprAlpha+1], v18    // *= alpha ( Ci += Ai * Cr_backup )
	;; [unrolled: 5-line block ×3, first 2 shown]

/* apply mask, calc new C and issue writes */
_buffer_store_b64 v[8:9], v6, s[sgprSrdD:sgprSrdD+3], 0, offen, offset:0,  nt // store D
_buffer_store_b64 v[10:11], v7, s[sgprSrdD:sgprSrdD+3], 0, offen, offset:0,  nt // store D
	;; [unrolled: 1-line block ×4, first 2 shown]
s_nop 0                                            // 1 wait state required when next inst writes vgprs held by previous dwordx4 store inst
s_branch label_GW_End_44                           // jump to end
GW_Beta_45:
s_and_b32 s56, 255, s[sgprSizeI]                   // s56 = s[sgprSizeI] % 256
s_add_u32 s57, -0x1, s[sgprNumWorkGroups0]         // 
s_cmp_ge_u32 s[sgprWorkGroup0], s57                // wg0 >= nwg0-1 ?
s_cselect_b32 s56, s56, 0                          // set rMT0
s_cmpk_gt_u32 s56, 0x0                             // rMT0 > 0
s_cbranch_scc1 GW_B1_E1_43                         // jump if edges required
s_mov_b32 s59, 0x0                                 // STATIC_DIV: divisior=112
s_mul_i32 s58, 0x492, s[sgprSizeJ]                 // tmp1 = dividend * magic hi
s_lshl_b64 s[58:59], s[58:59], 0x10                // left shift 16 bits
s_mul_i32 s57, s[sgprSizeJ], 0x4925                // tmp0 = dividend * magic lo
s_add_u32 s58, s57, s58                            // add lo
s_addc_u32 s59, s59, 0x0                           // add hi
s_lshr_b64 s[58:59], s[58:59], 0x21                // tmp1 = (dividend * magic) << shift
s_mov_b32 s57, s58                                 // quotient
s_mul_i32 s58, s57, 0x70                           // quotient*divisor
s_sub_u32 s56, s[sgprSizeJ], s58                   // rReg = dividend - quotient*divisor
s_add_u32 s57, -0x1, s[sgprNumWorkGroups1]         // 
s_cmp_ge_u32 s[sgprWorkGroup1], s57                // wg1 >= nwg1-1
s_cselect_b32 s56, s56, 0                          // set rMT1
s_cmpk_gt_u32 s56, 0x0                             // rMT1 > 0
s_cbranch_scc1 GW_B1_E1_43                         // jump if edges required
GW_B1_E0_40:

/* edge=0, allocate 2 sgpr. perBatchTmpS=2 perBatchMaskS=0 perElementMaskS=0 elementsPerBatch=4 */
/* optSingleColVgpr=1 optSharedColVgpr=0 optSGPRUsage=BufferLoad_Mask optSrdIncForRow=1 */
s_sleep 3 // optimization: sync and wait
s_barrier

/******************************************/
/* Global Write Alpha Beta Batch #0 (d1,d0,vc1,vc0) = */
/*    (0,0,0,0:vw2); (0,1,0,0:vw2); (0,0,1,0:vw2); (0,1,1,0:vw2) */
/******************************************/

/* calc coords, apply mask, and issue loads (if necessary) */
/* (d1,vc1,d0,vc0)=(0,0,0,0) */
_v_add_lshl_u32 v7, v2, v0, 0x3                    // optSingleColVgpr scaleToBpe: sharedAddrVgpr <- cinRowPtr + coord0, scaled by BPE. BSHERE:coord0=0, coord0Vgpr=0
_buffer_load_b128 v[8:11], v7, s[sgprSrdC:sgprSrdC+3], 0, offen offset:0,  nt // load C for beta calc
/* (d1,vc1,d0,vc0)=(0,0,1,0) */
_buffer_load_b128 v[16:19], v7, s[sgprSrdC:sgprSrdC+3], 0, offen offset:1024,  nt // load C for beta calc
/* (d1,vc1,d0,vc0)=(0,1,0,0) */
s_lshl_b32  s56, s[sgprStrideC1J], 3               // incToNextRow: Scale by BPE
s_add_u32  s[sgprSrdC+0], s[sgprSrdC+0], s56       // incToNextRow: gra SRD += inc(lower)
s_addc_u32  s[sgprSrdC+1], s[sgprSrdC+1], 0        // incToNextRow: gra SRD += inc(upper)
_buffer_load_b128 v[24:27], v7, s[sgprSrdC:sgprSrdC+3], 0, offen offset:0,  nt // load C for beta calc
/* (d1,vc1,d0,vc0)=(0,1,1,0) */
_buffer_load_b128 v[32:35], v7, s[sgprSrdC:sgprSrdC+3], 0, offen offset:1024,  nt // load C for beta calc
_v_add_lshl_u32 v6, v3, v0, 0x3                    // optSingleColVgpr scaleToBpe: sharedAddrVgpr <- cinRowPtr + coord0, scaled by BPE. BSHERE:coord0=0, coord0Vgpr=0
s_sleep 3 // optimization: sync and wait
s_barrier
v_accvgpr_read_b32 v[vgprValuC+12], acc0 // copy acc to vreg[0]
v_accvgpr_read_b32 v[vgprValuC+13], acc112 // copy acc to vreg[1]
v_accvgpr_read_b32 v[vgprValuC+14], acc4 // copy acc to vreg[2]
v_accvgpr_read_b32 v[vgprValuC+15], acc116 // copy acc to vreg[3]
v_accvgpr_read_b32 v[vgprValuC+20], acc8 // copy acc to vreg[4]
v_accvgpr_read_b32 v[vgprValuC+21], acc120 // copy acc to vreg[5]
v_accvgpr_read_b32 v[vgprValuC+22], acc12 // copy acc to vreg[6]
v_accvgpr_read_b32 v[vgprValuC+23], acc124 // copy acc to vreg[7]
v_accvgpr_read_b32 v[vgprValuC+28], acc1 // copy acc to vreg[8]
v_accvgpr_read_b32 v[vgprValuC+29], acc113 // copy acc to vreg[9]
v_accvgpr_read_b32 v[vgprValuC+30], acc5 // copy acc to vreg[10]
v_accvgpr_read_b32 v[vgprValuC+31], acc117 // copy acc to vreg[11]
v_accvgpr_read_b32 v[vgprValuC+36], acc9 // copy acc to vreg[12]
v_accvgpr_read_b32 v[vgprValuC+37], acc121 // copy acc to vreg[13]
v_accvgpr_read_b32 v[vgprValuC+38], acc13 // copy acc to vreg[14]
v_accvgpr_read_b32 v[vgprValuC+39], acc125 // copy acc to vreg[15]
s_nop 1                                            // 2 wait states required before reading vgpr

/* rC *= alpha batchElements=[(0, 0, 0, 0), (0, 1, 0, 0), (0, 0, 1, 0), (0, 1, 1, 0)] */
v_mov_b32 v40, v[vgprValuC+12]                     // store Cr
v_mul_f32 v[vgprValuC+12], s[sgprAlpha], v[vgprValuC+12] // *= alpha ( Cr = Ar * Cr)
_v_mac_f32 v[vgprValuC+12], -s[sgprAlpha+1], v[vgprValuC+13] // *= alpha ( Cr += -Ai * Ci )
v_mul_f32 v[vgprValuC+13], s[sgprAlpha], v[vgprValuC+13] // *= alpha ( Ci = Ar * Ci)
_v_mac_f32 v[vgprValuC+13], s[sgprAlpha+1], v40    // *= alpha ( Ci += Ai * Cr_backup )
v_mov_b32 v40, v[vgprValuC+14]                     // store Cr
v_mul_f32 v[vgprValuC+14], s[sgprAlpha], v[vgprValuC+14] // *= alpha ( Cr = Ar * Cr)
_v_mac_f32 v[vgprValuC+14], -s[sgprAlpha+1], v[vgprValuC+15] // *= alpha ( Cr += -Ai * Ci )
v_mul_f32 v[vgprValuC+15], s[sgprAlpha], v[vgprValuC+15] // *= alpha ( Ci = Ar * Ci)
_v_mac_f32 v[vgprValuC+15], s[sgprAlpha+1], v40    // *= alpha ( Ci += Ai * Cr_backup )
	;; [unrolled: 5-line block ×8, first 2 shown]

/* apply mask, calc new C and issue writes */

s_waitcnt vmcnt(3)                                 // wait C (interleaved) 3 = 4 - 0 + 0 - 1
_v_mac_f32 v[vgprValuC+12], v8, s[sgprBeta]        // finalSum Cr += old Cr * Br
_v_mac_f32 v[vgprValuC+12], v9, -s[sgprBeta+1]     // finalSum Cr += old Ci * -Bi
_v_mac_f32 v[vgprValuC+13], v9, s[sgprBeta]        // finalSum Ci += old Ci * Br
_v_mac_f32 v[vgprValuC+13], v8, s[sgprBeta+1]      // finalSum Ci += old Cr * Bi
_v_mac_f32 v[vgprValuC+14], v10, s[sgprBeta]       // finalSum Cr += old Cr * Br
_v_mac_f32 v[vgprValuC+14], v11, -s[sgprBeta+1]    // finalSum Cr += old Ci * -Bi
_v_mac_f32 v[vgprValuC+15], v11, s[sgprBeta]       // finalSum Ci += old Ci * Br
_v_mac_f32 v[vgprValuC+15], v10, s[sgprBeta+1]     // finalSum Ci += old Cr * Bi
_buffer_store_b128 v[12:15], v6, s[sgprSrdD:sgprSrdD+3], 0, offen, offset:0,  nt // store D

s_waitcnt vmcnt(3)                                 // wait C (interleaved) 3 = 4 - 1 + 1 - 1
_v_mac_f32 v[vgprValuC+20], v16, s[sgprBeta]       // finalSum Cr += old Cr * Br
_v_mac_f32 v[vgprValuC+20], v17, -s[sgprBeta+1]    // finalSum Cr += old Ci * -Bi
_v_mac_f32 v[vgprValuC+21], v17, s[sgprBeta]       // finalSum Ci += old Ci * Br
_v_mac_f32 v[vgprValuC+21], v16, s[sgprBeta+1]     // finalSum Ci += old Cr * Bi
_v_mac_f32 v[vgprValuC+22], v18, s[sgprBeta]       // finalSum Cr += old Cr * Br
_v_mac_f32 v[vgprValuC+22], v19, -s[sgprBeta+1]    // finalSum Cr += old Ci * -Bi
_v_mac_f32 v[vgprValuC+23], v19, s[sgprBeta]       // finalSum Ci += old Ci * Br
_v_mac_f32 v[vgprValuC+23], v18, s[sgprBeta+1]     // finalSum Ci += old Cr * Bi
_buffer_store_b128 v[20:23], v6, s[sgprSrdD:sgprSrdD+3], 0, offen, offset:1024,  nt // store D

s_waitcnt vmcnt(3)                                 // wait C (interleaved) 3 = 4 - 2 + 2 - 1
_v_mac_f32 v[vgprValuC+28], v24, s[sgprBeta]       // finalSum Cr += old Cr * Br
_v_mac_f32 v[vgprValuC+28], v25, -s[sgprBeta+1]    // finalSum Cr += old Ci * -Bi
_v_mac_f32 v[vgprValuC+29], v25, s[sgprBeta]       // finalSum Ci += old Ci * Br
_v_mac_f32 v[vgprValuC+29], v24, s[sgprBeta+1]     // finalSum Ci += old Cr * Bi
_v_mac_f32 v[vgprValuC+30], v26, s[sgprBeta]       // finalSum Cr += old Cr * Br
_v_mac_f32 v[vgprValuC+30], v27, -s[sgprBeta+1]    // finalSum Cr += old Ci * -Bi
_v_mac_f32 v[vgprValuC+31], v27, s[sgprBeta]       // finalSum Ci += old Ci * Br
_v_mac_f32 v[vgprValuC+31], v26, s[sgprBeta+1]     // finalSum Ci += old Cr * Bi
s_lshl_b32  s56, s[sgprStrideD1J], 3               // incToNextRow: Scale by BPE
s_add_u32  s[sgprSrdD+0], s[sgprSrdD+0], s56       // incToNextRow: gra SRD += inc(lower)
s_addc_u32  s[sgprSrdD+1], s[sgprSrdD+1], 0        // incToNextRow: gra SRD += inc(upper)
_buffer_store_b128 v[28:31], v6, s[sgprSrdD:sgprSrdD+3], 0, offen, offset:0,  nt // store D

s_waitcnt vmcnt(3)                                 // wait C (interleaved) 3 = 4 - 3 + 3 - 1
_v_mac_f32 v[vgprValuC+36], v32, s[sgprBeta]       // finalSum Cr += old Cr * Br
_v_mac_f32 v[vgprValuC+36], v33, -s[sgprBeta+1]    // finalSum Cr += old Ci * -Bi
_v_mac_f32 v[vgprValuC+37], v33, s[sgprBeta]       // finalSum Ci += old Ci * Br
_v_mac_f32 v[vgprValuC+37], v32, s[sgprBeta+1]     // finalSum Ci += old Cr * Bi
_v_mac_f32 v[vgprValuC+38], v34, s[sgprBeta]       // finalSum Cr += old Cr * Br
_v_mac_f32 v[vgprValuC+38], v35, -s[sgprBeta+1]    // finalSum Cr += old Ci * -Bi
_v_mac_f32 v[vgprValuC+39], v35, s[sgprBeta]       // finalSum Ci += old Ci * Br
_v_mac_f32 v[vgprValuC+39], v34, s[sgprBeta+1]     // finalSum Ci += old Cr * Bi
_buffer_store_b128 v[36:39], v6, s[sgprSrdD:sgprSrdD+3], 0, offen, offset:1024,  nt // store D
s_nop 0                                            // 1 wait state required when next inst writes vgprs held by previous dwordx4 store inst
/* optSingleColVgpr=1 optSharedColVgpr=0 optSGPRUsage=BufferLoad_Mask optSrdIncForRow=1 */
s_sleep 3 // optimization: sync and wait
s_barrier

/******************************************/
/* Global Write Alpha Beta Batch #1 (d1,d0,vc1,vc0) = */
/*    (0,0,2,0:vw2); (0,1,2,0:vw2); (0,0,3,0:vw2); (0,1,3,0:vw2) */
/******************************************/

/* calc coords, apply mask, and issue loads (if necessary) */
/* (d1,vc1,d0,vc0)=(0,2,0,0) */
s_lshl_b32  s56, s[sgprStrideC1J], 3               // incToNextRow: Scale by BPE
s_add_u32  s[sgprSrdC+0], s[sgprSrdC+0], s56       // incToNextRow: gra SRD += inc(lower)
s_addc_u32  s[sgprSrdC+1], s[sgprSrdC+1], 0        // incToNextRow: gra SRD += inc(upper)
_buffer_load_b128 v[8:11], v7, s[sgprSrdC:sgprSrdC+3], 0, offen offset:0,  nt // load C for beta calc
/* (d1,vc1,d0,vc0)=(0,2,1,0) */
_buffer_load_b128 v[16:19], v7, s[sgprSrdC:sgprSrdC+3], 0, offen offset:1024,  nt // load C for beta calc
/* (d1,vc1,d0,vc0)=(0,3,0,0) */
s_lshl_b32  s56, s[sgprStrideC1J], 3               // incToNextRow: Scale by BPE
s_add_u32  s[sgprSrdC+0], s[sgprSrdC+0], s56       // incToNextRow: gra SRD += inc(lower)
s_addc_u32  s[sgprSrdC+1], s[sgprSrdC+1], 0        // incToNextRow: gra SRD += inc(upper)
_buffer_load_b128 v[24:27], v7, s[sgprSrdC:sgprSrdC+3], 0, offen offset:0,  nt // load C for beta calc
/* (d1,vc1,d0,vc0)=(0,3,1,0) */
_buffer_load_b128 v[32:35], v7, s[sgprSrdC:sgprSrdC+3], 0, offen offset:1024,  nt // load C for beta calc
s_sleep 3 // optimization: sync and wait
s_barrier
v_accvgpr_read_b32 v[vgprValuC+12], acc2 // copy acc to vreg[16]
v_accvgpr_read_b32 v[vgprValuC+13], acc114 // copy acc to vreg[17]
v_accvgpr_read_b32 v[vgprValuC+14], acc6 // copy acc to vreg[18]
v_accvgpr_read_b32 v[vgprValuC+15], acc118 // copy acc to vreg[19]
v_accvgpr_read_b32 v[vgprValuC+20], acc10 // copy acc to vreg[20]
v_accvgpr_read_b32 v[vgprValuC+21], acc122 // copy acc to vreg[21]
v_accvgpr_read_b32 v[vgprValuC+22], acc14 // copy acc to vreg[22]
v_accvgpr_read_b32 v[vgprValuC+23], acc126 // copy acc to vreg[23]
v_accvgpr_read_b32 v[vgprValuC+28], acc3 // copy acc to vreg[24]
v_accvgpr_read_b32 v[vgprValuC+29], acc115 // copy acc to vreg[25]
v_accvgpr_read_b32 v[vgprValuC+30], acc7 // copy acc to vreg[26]
v_accvgpr_read_b32 v[vgprValuC+31], acc119 // copy acc to vreg[27]
v_accvgpr_read_b32 v[vgprValuC+36], acc11 // copy acc to vreg[28]
v_accvgpr_read_b32 v[vgprValuC+37], acc123 // copy acc to vreg[29]
v_accvgpr_read_b32 v[vgprValuC+38], acc15 // copy acc to vreg[30]
v_accvgpr_read_b32 v[vgprValuC+39], acc127 // copy acc to vreg[31]
s_nop 1                                            // 2 wait states required before reading vgpr

/* rC *= alpha batchElements=[(0, 0, 2, 0), (0, 1, 2, 0), (0, 0, 3, 0), (0, 1, 3, 0)] */
v_mov_b32 v40, v[vgprValuC+12]                     // store Cr
v_mul_f32 v[vgprValuC+12], s[sgprAlpha], v[vgprValuC+12] // *= alpha ( Cr = Ar * Cr)
_v_mac_f32 v[vgprValuC+12], -s[sgprAlpha+1], v[vgprValuC+13] // *= alpha ( Cr += -Ai * Ci )
v_mul_f32 v[vgprValuC+13], s[sgprAlpha], v[vgprValuC+13] // *= alpha ( Ci = Ar * Ci)
_v_mac_f32 v[vgprValuC+13], s[sgprAlpha+1], v40    // *= alpha ( Ci += Ai * Cr_backup )
v_mov_b32 v40, v[vgprValuC+14]                     // store Cr
v_mul_f32 v[vgprValuC+14], s[sgprAlpha], v[vgprValuC+14] // *= alpha ( Cr = Ar * Cr)
_v_mac_f32 v[vgprValuC+14], -s[sgprAlpha+1], v[vgprValuC+15] // *= alpha ( Cr += -Ai * Ci )
v_mul_f32 v[vgprValuC+15], s[sgprAlpha], v[vgprValuC+15] // *= alpha ( Ci = Ar * Ci)
_v_mac_f32 v[vgprValuC+15], s[sgprAlpha+1], v40    // *= alpha ( Ci += Ai * Cr_backup )
	;; [unrolled: 5-line block ×8, first 2 shown]

/* apply mask, calc new C and issue writes */

s_waitcnt vmcnt(3)                                 // wait C (interleaved) 3 = 4 - 0 + 0 - 1
_v_mac_f32 v[vgprValuC+12], v8, s[sgprBeta]        // finalSum Cr += old Cr * Br
_v_mac_f32 v[vgprValuC+12], v9, -s[sgprBeta+1]     // finalSum Cr += old Ci * -Bi
_v_mac_f32 v[vgprValuC+13], v9, s[sgprBeta]        // finalSum Ci += old Ci * Br
_v_mac_f32 v[vgprValuC+13], v8, s[sgprBeta+1]      // finalSum Ci += old Cr * Bi
_v_mac_f32 v[vgprValuC+14], v10, s[sgprBeta]       // finalSum Cr += old Cr * Br
_v_mac_f32 v[vgprValuC+14], v11, -s[sgprBeta+1]    // finalSum Cr += old Ci * -Bi
_v_mac_f32 v[vgprValuC+15], v11, s[sgprBeta]       // finalSum Ci += old Ci * Br
_v_mac_f32 v[vgprValuC+15], v10, s[sgprBeta+1]     // finalSum Ci += old Cr * Bi
s_lshl_b32  s56, s[sgprStrideD1J], 3               // incToNextRow: Scale by BPE
s_add_u32  s[sgprSrdD+0], s[sgprSrdD+0], s56       // incToNextRow: gra SRD += inc(lower)
s_addc_u32  s[sgprSrdD+1], s[sgprSrdD+1], 0        // incToNextRow: gra SRD += inc(upper)
_buffer_store_b128 v[12:15], v6, s[sgprSrdD:sgprSrdD+3], 0, offen, offset:0,  nt // store D

s_waitcnt vmcnt(3)                                 // wait C (interleaved) 3 = 4 - 1 + 1 - 1
_v_mac_f32 v[vgprValuC+20], v16, s[sgprBeta]       // finalSum Cr += old Cr * Br
_v_mac_f32 v[vgprValuC+20], v17, -s[sgprBeta+1]    // finalSum Cr += old Ci * -Bi
_v_mac_f32 v[vgprValuC+21], v17, s[sgprBeta]       // finalSum Ci += old Ci * Br
_v_mac_f32 v[vgprValuC+21], v16, s[sgprBeta+1]     // finalSum Ci += old Cr * Bi
_v_mac_f32 v[vgprValuC+22], v18, s[sgprBeta]       // finalSum Cr += old Cr * Br
_v_mac_f32 v[vgprValuC+22], v19, -s[sgprBeta+1]    // finalSum Cr += old Ci * -Bi
_v_mac_f32 v[vgprValuC+23], v19, s[sgprBeta]       // finalSum Ci += old Ci * Br
_v_mac_f32 v[vgprValuC+23], v18, s[sgprBeta+1]     // finalSum Ci += old Cr * Bi
_buffer_store_b128 v[20:23], v6, s[sgprSrdD:sgprSrdD+3], 0, offen, offset:1024,  nt // store D

s_waitcnt vmcnt(3)                                 // wait C (interleaved) 3 = 4 - 2 + 2 - 1
_v_mac_f32 v[vgprValuC+28], v24, s[sgprBeta]       // finalSum Cr += old Cr * Br
_v_mac_f32 v[vgprValuC+28], v25, -s[sgprBeta+1]    // finalSum Cr += old Ci * -Bi
_v_mac_f32 v[vgprValuC+29], v25, s[sgprBeta]       // finalSum Ci += old Ci * Br
_v_mac_f32 v[vgprValuC+29], v24, s[sgprBeta+1]     // finalSum Ci += old Cr * Bi
_v_mac_f32 v[vgprValuC+30], v26, s[sgprBeta]       // finalSum Cr += old Cr * Br
_v_mac_f32 v[vgprValuC+30], v27, -s[sgprBeta+1]    // finalSum Cr += old Ci * -Bi
_v_mac_f32 v[vgprValuC+31], v27, s[sgprBeta]       // finalSum Ci += old Ci * Br
_v_mac_f32 v[vgprValuC+31], v26, s[sgprBeta+1]     // finalSum Ci += old Cr * Bi
s_lshl_b32  s56, s[sgprStrideD1J], 3               // incToNextRow: Scale by BPE
s_add_u32  s[sgprSrdD+0], s[sgprSrdD+0], s56       // incToNextRow: gra SRD += inc(lower)
s_addc_u32  s[sgprSrdD+1], s[sgprSrdD+1], 0        // incToNextRow: gra SRD += inc(upper)
_buffer_store_b128 v[28:31], v6, s[sgprSrdD:sgprSrdD+3], 0, offen, offset:0,  nt // store D

s_waitcnt vmcnt(3)                                 // wait C (interleaved) 3 = 4 - 3 + 3 - 1
_v_mac_f32 v[vgprValuC+36], v32, s[sgprBeta]       // finalSum Cr += old Cr * Br
_v_mac_f32 v[vgprValuC+36], v33, -s[sgprBeta+1]    // finalSum Cr += old Ci * -Bi
_v_mac_f32 v[vgprValuC+37], v33, s[sgprBeta]       // finalSum Ci += old Ci * Br
_v_mac_f32 v[vgprValuC+37], v32, s[sgprBeta+1]     // finalSum Ci += old Cr * Bi
_v_mac_f32 v[vgprValuC+38], v34, s[sgprBeta]       // finalSum Cr += old Cr * Br
_v_mac_f32 v[vgprValuC+38], v35, -s[sgprBeta+1]    // finalSum Cr += old Ci * -Bi
_v_mac_f32 v[vgprValuC+39], v35, s[sgprBeta]       // finalSum Ci += old Ci * Br
_v_mac_f32 v[vgprValuC+39], v34, s[sgprBeta+1]     // finalSum Ci += old Cr * Bi
_buffer_store_b128 v[36:39], v6, s[sgprSrdD:sgprSrdD+3], 0, offen, offset:1024,  nt // store D
s_nop 0                                            // 1 wait state required when next inst writes vgprs held by previous dwordx4 store inst
/* optSingleColVgpr=1 optSharedColVgpr=0 optSGPRUsage=BufferLoad_Mask optSrdIncForRow=1 */
s_sleep 3 // optimization: sync and wait
s_barrier

/******************************************/
/* Global Write Alpha Beta Batch #2 (d1,d0,vc1,vc0) = */
/*    (1,0,0,0:vw2); (1,1,0,0:vw2); (1,0,1,0:vw2); (1,1,1,0:vw2) */
/******************************************/

/* calc coords, apply mask, and issue loads (if necessary) */
/* (d1,vc1,d0,vc0)=(1,0,0,0) */
s_mul_i32 s56, s[sgprStrideC1J], 104               // scale StrideC *= numRows(13) * bpe
s_add_u32  s[sgprSrdC+0], s[sgprSrdC+0], s56       // incToNextRow: gra SRD += inc(lower)
s_addc_u32  s[sgprSrdC+1], s[sgprSrdC+1], 0        // incToNextRow: gra SRD += inc(upper)
_buffer_load_b128 v[8:11], v7, s[sgprSrdC:sgprSrdC+3], 0, offen offset:0,  nt // load C for beta calc
/* (d1,vc1,d0,vc0)=(1,0,1,0) */
_buffer_load_b128 v[16:19], v7, s[sgprSrdC:sgprSrdC+3], 0, offen offset:1024,  nt // load C for beta calc
/* (d1,vc1,d0,vc0)=(1,1,0,0) */
s_lshl_b32  s56, s[sgprStrideC1J], 3               // incToNextRow: Scale by BPE
s_add_u32  s[sgprSrdC+0], s[sgprSrdC+0], s56       // incToNextRow: gra SRD += inc(lower)
s_addc_u32  s[sgprSrdC+1], s[sgprSrdC+1], 0        // incToNextRow: gra SRD += inc(upper)
_buffer_load_b128 v[24:27], v7, s[sgprSrdC:sgprSrdC+3], 0, offen offset:0,  nt // load C for beta calc
/* (d1,vc1,d0,vc0)=(1,1,1,0) */
_buffer_load_b128 v[32:35], v7, s[sgprSrdC:sgprSrdC+3], 0, offen offset:1024,  nt // load C for beta calc
s_sleep 3 // optimization: sync and wait
s_barrier
v_accvgpr_read_b32 v[vgprValuC+12], acc16 // copy acc to vreg[32]
v_accvgpr_read_b32 v[vgprValuC+13], acc128 // copy acc to vreg[33]
v_accvgpr_read_b32 v[vgprValuC+14], acc20 // copy acc to vreg[34]
v_accvgpr_read_b32 v[vgprValuC+15], acc132 // copy acc to vreg[35]
v_accvgpr_read_b32 v[vgprValuC+20], acc24 // copy acc to vreg[36]
v_accvgpr_read_b32 v[vgprValuC+21], acc136 // copy acc to vreg[37]
v_accvgpr_read_b32 v[vgprValuC+22], acc28 // copy acc to vreg[38]
v_accvgpr_read_b32 v[vgprValuC+23], acc140 // copy acc to vreg[39]
v_accvgpr_read_b32 v[vgprValuC+28], acc17 // copy acc to vreg[40]
v_accvgpr_read_b32 v[vgprValuC+29], acc129 // copy acc to vreg[41]
v_accvgpr_read_b32 v[vgprValuC+30], acc21 // copy acc to vreg[42]
v_accvgpr_read_b32 v[vgprValuC+31], acc133 // copy acc to vreg[43]
v_accvgpr_read_b32 v[vgprValuC+36], acc25 // copy acc to vreg[44]
v_accvgpr_read_b32 v[vgprValuC+37], acc137 // copy acc to vreg[45]
v_accvgpr_read_b32 v[vgprValuC+38], acc29 // copy acc to vreg[46]
v_accvgpr_read_b32 v[vgprValuC+39], acc141 // copy acc to vreg[47]
s_nop 1                                            // 2 wait states required before reading vgpr

/* rC *= alpha batchElements=[(1, 0, 0, 0), (1, 1, 0, 0), (1, 0, 1, 0), (1, 1, 1, 0)] */
v_mov_b32 v40, v[vgprValuC+12]                     // store Cr
v_mul_f32 v[vgprValuC+12], s[sgprAlpha], v[vgprValuC+12] // *= alpha ( Cr = Ar * Cr)
_v_mac_f32 v[vgprValuC+12], -s[sgprAlpha+1], v[vgprValuC+13] // *= alpha ( Cr += -Ai * Ci )
v_mul_f32 v[vgprValuC+13], s[sgprAlpha], v[vgprValuC+13] // *= alpha ( Ci = Ar * Ci)
_v_mac_f32 v[vgprValuC+13], s[sgprAlpha+1], v40    // *= alpha ( Ci += Ai * Cr_backup )
v_mov_b32 v40, v[vgprValuC+14]                     // store Cr
v_mul_f32 v[vgprValuC+14], s[sgprAlpha], v[vgprValuC+14] // *= alpha ( Cr = Ar * Cr)
_v_mac_f32 v[vgprValuC+14], -s[sgprAlpha+1], v[vgprValuC+15] // *= alpha ( Cr += -Ai * Ci )
v_mul_f32 v[vgprValuC+15], s[sgprAlpha], v[vgprValuC+15] // *= alpha ( Ci = Ar * Ci)
_v_mac_f32 v[vgprValuC+15], s[sgprAlpha+1], v40    // *= alpha ( Ci += Ai * Cr_backup )
	;; [unrolled: 5-line block ×8, first 2 shown]

/* apply mask, calc new C and issue writes */

s_waitcnt vmcnt(3)                                 // wait C (interleaved) 3 = 4 - 0 + 0 - 1
_v_mac_f32 v[vgprValuC+12], v8, s[sgprBeta]        // finalSum Cr += old Cr * Br
_v_mac_f32 v[vgprValuC+12], v9, -s[sgprBeta+1]     // finalSum Cr += old Ci * -Bi
_v_mac_f32 v[vgprValuC+13], v9, s[sgprBeta]        // finalSum Ci += old Ci * Br
_v_mac_f32 v[vgprValuC+13], v8, s[sgprBeta+1]      // finalSum Ci += old Cr * Bi
_v_mac_f32 v[vgprValuC+14], v10, s[sgprBeta]       // finalSum Cr += old Cr * Br
_v_mac_f32 v[vgprValuC+14], v11, -s[sgprBeta+1]    // finalSum Cr += old Ci * -Bi
_v_mac_f32 v[vgprValuC+15], v11, s[sgprBeta]       // finalSum Ci += old Ci * Br
_v_mac_f32 v[vgprValuC+15], v10, s[sgprBeta+1]     // finalSum Ci += old Cr * Bi
s_mul_i32 s56, s[sgprStrideD1J], 104               // scale StrideD *= numRows(13) * bpe
s_add_u32  s[sgprSrdD+0], s[sgprSrdD+0], s56       // incToNextRow: gra SRD += inc(lower)
s_addc_u32  s[sgprSrdD+1], s[sgprSrdD+1], 0        // incToNextRow: gra SRD += inc(upper)
_buffer_store_b128 v[12:15], v6, s[sgprSrdD:sgprSrdD+3], 0, offen, offset:0,  nt // store D

s_waitcnt vmcnt(3)                                 // wait C (interleaved) 3 = 4 - 1 + 1 - 1
_v_mac_f32 v[vgprValuC+20], v16, s[sgprBeta]       // finalSum Cr += old Cr * Br
_v_mac_f32 v[vgprValuC+20], v17, -s[sgprBeta+1]    // finalSum Cr += old Ci * -Bi
_v_mac_f32 v[vgprValuC+21], v17, s[sgprBeta]       // finalSum Ci += old Ci * Br
_v_mac_f32 v[vgprValuC+21], v16, s[sgprBeta+1]     // finalSum Ci += old Cr * Bi
_v_mac_f32 v[vgprValuC+22], v18, s[sgprBeta]       // finalSum Cr += old Cr * Br
_v_mac_f32 v[vgprValuC+22], v19, -s[sgprBeta+1]    // finalSum Cr += old Ci * -Bi
_v_mac_f32 v[vgprValuC+23], v19, s[sgprBeta]       // finalSum Ci += old Ci * Br
_v_mac_f32 v[vgprValuC+23], v18, s[sgprBeta+1]     // finalSum Ci += old Cr * Bi
_buffer_store_b128 v[20:23], v6, s[sgprSrdD:sgprSrdD+3], 0, offen, offset:1024,  nt // store D

s_waitcnt vmcnt(3)                                 // wait C (interleaved) 3 = 4 - 2 + 2 - 1
_v_mac_f32 v[vgprValuC+28], v24, s[sgprBeta]       // finalSum Cr += old Cr * Br
_v_mac_f32 v[vgprValuC+28], v25, -s[sgprBeta+1]    // finalSum Cr += old Ci * -Bi
_v_mac_f32 v[vgprValuC+29], v25, s[sgprBeta]       // finalSum Ci += old Ci * Br
_v_mac_f32 v[vgprValuC+29], v24, s[sgprBeta+1]     // finalSum Ci += old Cr * Bi
_v_mac_f32 v[vgprValuC+30], v26, s[sgprBeta]       // finalSum Cr += old Cr * Br
_v_mac_f32 v[vgprValuC+30], v27, -s[sgprBeta+1]    // finalSum Cr += old Ci * -Bi
_v_mac_f32 v[vgprValuC+31], v27, s[sgprBeta]       // finalSum Ci += old Ci * Br
_v_mac_f32 v[vgprValuC+31], v26, s[sgprBeta+1]     // finalSum Ci += old Cr * Bi
s_lshl_b32  s56, s[sgprStrideD1J], 3               // incToNextRow: Scale by BPE
s_add_u32  s[sgprSrdD+0], s[sgprSrdD+0], s56       // incToNextRow: gra SRD += inc(lower)
s_addc_u32  s[sgprSrdD+1], s[sgprSrdD+1], 0        // incToNextRow: gra SRD += inc(upper)
_buffer_store_b128 v[28:31], v6, s[sgprSrdD:sgprSrdD+3], 0, offen, offset:0,  nt // store D

s_waitcnt vmcnt(3)                                 // wait C (interleaved) 3 = 4 - 3 + 3 - 1
_v_mac_f32 v[vgprValuC+36], v32, s[sgprBeta]       // finalSum Cr += old Cr * Br
_v_mac_f32 v[vgprValuC+36], v33, -s[sgprBeta+1]    // finalSum Cr += old Ci * -Bi
_v_mac_f32 v[vgprValuC+37], v33, s[sgprBeta]       // finalSum Ci += old Ci * Br
_v_mac_f32 v[vgprValuC+37], v32, s[sgprBeta+1]     // finalSum Ci += old Cr * Bi
_v_mac_f32 v[vgprValuC+38], v34, s[sgprBeta]       // finalSum Cr += old Cr * Br
_v_mac_f32 v[vgprValuC+38], v35, -s[sgprBeta+1]    // finalSum Cr += old Ci * -Bi
_v_mac_f32 v[vgprValuC+39], v35, s[sgprBeta]       // finalSum Ci += old Ci * Br
_v_mac_f32 v[vgprValuC+39], v34, s[sgprBeta+1]     // finalSum Ci += old Cr * Bi
_buffer_store_b128 v[36:39], v6, s[sgprSrdD:sgprSrdD+3], 0, offen, offset:1024,  nt // store D
s_nop 0                                            // 1 wait state required when next inst writes vgprs held by previous dwordx4 store inst
/* optSingleColVgpr=1 optSharedColVgpr=0 optSGPRUsage=BufferLoad_Mask optSrdIncForRow=1 */
s_sleep 3 // optimization: sync and wait
s_barrier

/******************************************/
/* Global Write Alpha Beta Batch #3 (d1,d0,vc1,vc0) = */
/*    (1,0,2,0:vw2); (1,1,2,0:vw2); (1,0,3,0:vw2); (1,1,3,0:vw2) */
/******************************************/

/* calc coords, apply mask, and issue loads (if necessary) */
/* (d1,vc1,d0,vc0)=(1,2,0,0) */
s_lshl_b32  s56, s[sgprStrideC1J], 3               // incToNextRow: Scale by BPE
s_add_u32  s[sgprSrdC+0], s[sgprSrdC+0], s56       // incToNextRow: gra SRD += inc(lower)
s_addc_u32  s[sgprSrdC+1], s[sgprSrdC+1], 0        // incToNextRow: gra SRD += inc(upper)
_buffer_load_b128 v[8:11], v7, s[sgprSrdC:sgprSrdC+3], 0, offen offset:0,  nt // load C for beta calc
/* (d1,vc1,d0,vc0)=(1,2,1,0) */
_buffer_load_b128 v[16:19], v7, s[sgprSrdC:sgprSrdC+3], 0, offen offset:1024,  nt // load C for beta calc
/* (d1,vc1,d0,vc0)=(1,3,0,0) */
s_lshl_b32  s56, s[sgprStrideC1J], 3               // incToNextRow: Scale by BPE
s_add_u32  s[sgprSrdC+0], s[sgprSrdC+0], s56       // incToNextRow: gra SRD += inc(lower)
s_addc_u32  s[sgprSrdC+1], s[sgprSrdC+1], 0        // incToNextRow: gra SRD += inc(upper)
_buffer_load_b128 v[24:27], v7, s[sgprSrdC:sgprSrdC+3], 0, offen offset:0,  nt // load C for beta calc
/* (d1,vc1,d0,vc0)=(1,3,1,0) */
_buffer_load_b128 v[32:35], v7, s[sgprSrdC:sgprSrdC+3], 0, offen offset:1024,  nt // load C for beta calc
s_sleep 3 // optimization: sync and wait
s_barrier
v_accvgpr_read_b32 v[vgprValuC+12], acc18 // copy acc to vreg[48]
v_accvgpr_read_b32 v[vgprValuC+13], acc130 // copy acc to vreg[49]
v_accvgpr_read_b32 v[vgprValuC+14], acc22 // copy acc to vreg[50]
v_accvgpr_read_b32 v[vgprValuC+15], acc134 // copy acc to vreg[51]
v_accvgpr_read_b32 v[vgprValuC+20], acc26 // copy acc to vreg[52]
v_accvgpr_read_b32 v[vgprValuC+21], acc138 // copy acc to vreg[53]
v_accvgpr_read_b32 v[vgprValuC+22], acc30 // copy acc to vreg[54]
v_accvgpr_read_b32 v[vgprValuC+23], acc142 // copy acc to vreg[55]
v_accvgpr_read_b32 v[vgprValuC+28], acc19 // copy acc to vreg[56]
v_accvgpr_read_b32 v[vgprValuC+29], acc131 // copy acc to vreg[57]
v_accvgpr_read_b32 v[vgprValuC+30], acc23 // copy acc to vreg[58]
v_accvgpr_read_b32 v[vgprValuC+31], acc135 // copy acc to vreg[59]
v_accvgpr_read_b32 v[vgprValuC+36], acc27 // copy acc to vreg[60]
v_accvgpr_read_b32 v[vgprValuC+37], acc139 // copy acc to vreg[61]
v_accvgpr_read_b32 v[vgprValuC+38], acc31 // copy acc to vreg[62]
v_accvgpr_read_b32 v[vgprValuC+39], acc143 // copy acc to vreg[63]
s_nop 1                                            // 2 wait states required before reading vgpr

/* rC *= alpha batchElements=[(1, 0, 2, 0), (1, 1, 2, 0), (1, 0, 3, 0), (1, 1, 3, 0)] */
v_mov_b32 v40, v[vgprValuC+12]                     // store Cr
v_mul_f32 v[vgprValuC+12], s[sgprAlpha], v[vgprValuC+12] // *= alpha ( Cr = Ar * Cr)
_v_mac_f32 v[vgprValuC+12], -s[sgprAlpha+1], v[vgprValuC+13] // *= alpha ( Cr += -Ai * Ci )
v_mul_f32 v[vgprValuC+13], s[sgprAlpha], v[vgprValuC+13] // *= alpha ( Ci = Ar * Ci)
_v_mac_f32 v[vgprValuC+13], s[sgprAlpha+1], v40    // *= alpha ( Ci += Ai * Cr_backup )
v_mov_b32 v40, v[vgprValuC+14]                     // store Cr
v_mul_f32 v[vgprValuC+14], s[sgprAlpha], v[vgprValuC+14] // *= alpha ( Cr = Ar * Cr)
_v_mac_f32 v[vgprValuC+14], -s[sgprAlpha+1], v[vgprValuC+15] // *= alpha ( Cr += -Ai * Ci )
v_mul_f32 v[vgprValuC+15], s[sgprAlpha], v[vgprValuC+15] // *= alpha ( Ci = Ar * Ci)
_v_mac_f32 v[vgprValuC+15], s[sgprAlpha+1], v40    // *= alpha ( Ci += Ai * Cr_backup )
	;; [unrolled: 5-line block ×8, first 2 shown]

/* apply mask, calc new C and issue writes */

s_waitcnt vmcnt(3)                                 // wait C (interleaved) 3 = 4 - 0 + 0 - 1
_v_mac_f32 v[vgprValuC+12], v8, s[sgprBeta]        // finalSum Cr += old Cr * Br
_v_mac_f32 v[vgprValuC+12], v9, -s[sgprBeta+1]     // finalSum Cr += old Ci * -Bi
_v_mac_f32 v[vgprValuC+13], v9, s[sgprBeta]        // finalSum Ci += old Ci * Br
_v_mac_f32 v[vgprValuC+13], v8, s[sgprBeta+1]      // finalSum Ci += old Cr * Bi
_v_mac_f32 v[vgprValuC+14], v10, s[sgprBeta]       // finalSum Cr += old Cr * Br
_v_mac_f32 v[vgprValuC+14], v11, -s[sgprBeta+1]    // finalSum Cr += old Ci * -Bi
_v_mac_f32 v[vgprValuC+15], v11, s[sgprBeta]       // finalSum Ci += old Ci * Br
_v_mac_f32 v[vgprValuC+15], v10, s[sgprBeta+1]     // finalSum Ci += old Cr * Bi
s_lshl_b32  s56, s[sgprStrideD1J], 3               // incToNextRow: Scale by BPE
s_add_u32  s[sgprSrdD+0], s[sgprSrdD+0], s56       // incToNextRow: gra SRD += inc(lower)
s_addc_u32  s[sgprSrdD+1], s[sgprSrdD+1], 0        // incToNextRow: gra SRD += inc(upper)
_buffer_store_b128 v[12:15], v6, s[sgprSrdD:sgprSrdD+3], 0, offen, offset:0,  nt // store D

s_waitcnt vmcnt(3)                                 // wait C (interleaved) 3 = 4 - 1 + 1 - 1
_v_mac_f32 v[vgprValuC+20], v16, s[sgprBeta]       // finalSum Cr += old Cr * Br
_v_mac_f32 v[vgprValuC+20], v17, -s[sgprBeta+1]    // finalSum Cr += old Ci * -Bi
_v_mac_f32 v[vgprValuC+21], v17, s[sgprBeta]       // finalSum Ci += old Ci * Br
_v_mac_f32 v[vgprValuC+21], v16, s[sgprBeta+1]     // finalSum Ci += old Cr * Bi
_v_mac_f32 v[vgprValuC+22], v18, s[sgprBeta]       // finalSum Cr += old Cr * Br
_v_mac_f32 v[vgprValuC+22], v19, -s[sgprBeta+1]    // finalSum Cr += old Ci * -Bi
_v_mac_f32 v[vgprValuC+23], v19, s[sgprBeta]       // finalSum Ci += old Ci * Br
_v_mac_f32 v[vgprValuC+23], v18, s[sgprBeta+1]     // finalSum Ci += old Cr * Bi
_buffer_store_b128 v[20:23], v6, s[sgprSrdD:sgprSrdD+3], 0, offen, offset:1024,  nt // store D

s_waitcnt vmcnt(3)                                 // wait C (interleaved) 3 = 4 - 2 + 2 - 1
_v_mac_f32 v[vgprValuC+28], v24, s[sgprBeta]       // finalSum Cr += old Cr * Br
_v_mac_f32 v[vgprValuC+28], v25, -s[sgprBeta+1]    // finalSum Cr += old Ci * -Bi
_v_mac_f32 v[vgprValuC+29], v25, s[sgprBeta]       // finalSum Ci += old Ci * Br
_v_mac_f32 v[vgprValuC+29], v24, s[sgprBeta+1]     // finalSum Ci += old Cr * Bi
_v_mac_f32 v[vgprValuC+30], v26, s[sgprBeta]       // finalSum Cr += old Cr * Br
_v_mac_f32 v[vgprValuC+30], v27, -s[sgprBeta+1]    // finalSum Cr += old Ci * -Bi
_v_mac_f32 v[vgprValuC+31], v27, s[sgprBeta]       // finalSum Ci += old Ci * Br
_v_mac_f32 v[vgprValuC+31], v26, s[sgprBeta+1]     // finalSum Ci += old Cr * Bi
s_lshl_b32  s56, s[sgprStrideD1J], 3               // incToNextRow: Scale by BPE
s_add_u32  s[sgprSrdD+0], s[sgprSrdD+0], s56       // incToNextRow: gra SRD += inc(lower)
s_addc_u32  s[sgprSrdD+1], s[sgprSrdD+1], 0        // incToNextRow: gra SRD += inc(upper)
_buffer_store_b128 v[28:31], v6, s[sgprSrdD:sgprSrdD+3], 0, offen, offset:0,  nt // store D

s_waitcnt vmcnt(3)                                 // wait C (interleaved) 3 = 4 - 3 + 3 - 1
_v_mac_f32 v[vgprValuC+36], v32, s[sgprBeta]       // finalSum Cr += old Cr * Br
_v_mac_f32 v[vgprValuC+36], v33, -s[sgprBeta+1]    // finalSum Cr += old Ci * -Bi
_v_mac_f32 v[vgprValuC+37], v33, s[sgprBeta]       // finalSum Ci += old Ci * Br
_v_mac_f32 v[vgprValuC+37], v32, s[sgprBeta+1]     // finalSum Ci += old Cr * Bi
_v_mac_f32 v[vgprValuC+38], v34, s[sgprBeta]       // finalSum Cr += old Cr * Br
_v_mac_f32 v[vgprValuC+38], v35, -s[sgprBeta+1]    // finalSum Cr += old Ci * -Bi
_v_mac_f32 v[vgprValuC+39], v35, s[sgprBeta]       // finalSum Ci += old Ci * Br
_v_mac_f32 v[vgprValuC+39], v34, s[sgprBeta+1]     // finalSum Ci += old Cr * Bi
_buffer_store_b128 v[36:39], v6, s[sgprSrdD:sgprSrdD+3], 0, offen, offset:1024,  nt // store D
s_nop 0                                            // 1 wait state required when next inst writes vgprs held by previous dwordx4 store inst
/* optSingleColVgpr=1 optSharedColVgpr=0 optSGPRUsage=BufferLoad_Mask optSrdIncForRow=1 */
s_sleep 3 // optimization: sync and wait
s_barrier

/******************************************/
/* Global Write Alpha Beta Batch #4 (d1,d0,vc1,vc0) = */
/*    (2,0,0,0:vw2); (2,1,0,0:vw2); (2,0,1,0:vw2); (2,1,1,0:vw2) */
/******************************************/

/* calc coords, apply mask, and issue loads (if necessary) */
/* (d1,vc1,d0,vc0)=(2,0,0,0) */
s_mul_i32 s56, s[sgprStrideC1J], 104               // scale StrideC *= numRows(13) * bpe
s_add_u32  s[sgprSrdC+0], s[sgprSrdC+0], s56       // incToNextRow: gra SRD += inc(lower)
s_addc_u32  s[sgprSrdC+1], s[sgprSrdC+1], 0        // incToNextRow: gra SRD += inc(upper)
_buffer_load_b128 v[8:11], v7, s[sgprSrdC:sgprSrdC+3], 0, offen offset:0,  nt // load C for beta calc
/* (d1,vc1,d0,vc0)=(2,0,1,0) */
_buffer_load_b128 v[16:19], v7, s[sgprSrdC:sgprSrdC+3], 0, offen offset:1024,  nt // load C for beta calc
/* (d1,vc1,d0,vc0)=(2,1,0,0) */
s_lshl_b32  s56, s[sgprStrideC1J], 3               // incToNextRow: Scale by BPE
s_add_u32  s[sgprSrdC+0], s[sgprSrdC+0], s56       // incToNextRow: gra SRD += inc(lower)
s_addc_u32  s[sgprSrdC+1], s[sgprSrdC+1], 0        // incToNextRow: gra SRD += inc(upper)
_buffer_load_b128 v[24:27], v7, s[sgprSrdC:sgprSrdC+3], 0, offen offset:0,  nt // load C for beta calc
/* (d1,vc1,d0,vc0)=(2,1,1,0) */
_buffer_load_b128 v[32:35], v7, s[sgprSrdC:sgprSrdC+3], 0, offen offset:1024,  nt // load C for beta calc
s_sleep 3 // optimization: sync and wait
s_barrier
v_accvgpr_read_b32 v[vgprValuC+12], acc32 // copy acc to vreg[64]
v_accvgpr_read_b32 v[vgprValuC+13], acc144 // copy acc to vreg[65]
v_accvgpr_read_b32 v[vgprValuC+14], acc36 // copy acc to vreg[66]
v_accvgpr_read_b32 v[vgprValuC+15], acc148 // copy acc to vreg[67]
v_accvgpr_read_b32 v[vgprValuC+20], acc40 // copy acc to vreg[68]
v_accvgpr_read_b32 v[vgprValuC+21], acc152 // copy acc to vreg[69]
v_accvgpr_read_b32 v[vgprValuC+22], acc44 // copy acc to vreg[70]
v_accvgpr_read_b32 v[vgprValuC+23], acc156 // copy acc to vreg[71]
v_accvgpr_read_b32 v[vgprValuC+28], acc33 // copy acc to vreg[72]
v_accvgpr_read_b32 v[vgprValuC+29], acc145 // copy acc to vreg[73]
v_accvgpr_read_b32 v[vgprValuC+30], acc37 // copy acc to vreg[74]
v_accvgpr_read_b32 v[vgprValuC+31], acc149 // copy acc to vreg[75]
v_accvgpr_read_b32 v[vgprValuC+36], acc41 // copy acc to vreg[76]
v_accvgpr_read_b32 v[vgprValuC+37], acc153 // copy acc to vreg[77]
v_accvgpr_read_b32 v[vgprValuC+38], acc45 // copy acc to vreg[78]
v_accvgpr_read_b32 v[vgprValuC+39], acc157 // copy acc to vreg[79]
s_nop 1                                            // 2 wait states required before reading vgpr

/* rC *= alpha batchElements=[(2, 0, 0, 0), (2, 1, 0, 0), (2, 0, 1, 0), (2, 1, 1, 0)] */
v_mov_b32 v40, v[vgprValuC+12]                     // store Cr
v_mul_f32 v[vgprValuC+12], s[sgprAlpha], v[vgprValuC+12] // *= alpha ( Cr = Ar * Cr)
_v_mac_f32 v[vgprValuC+12], -s[sgprAlpha+1], v[vgprValuC+13] // *= alpha ( Cr += -Ai * Ci )
v_mul_f32 v[vgprValuC+13], s[sgprAlpha], v[vgprValuC+13] // *= alpha ( Ci = Ar * Ci)
_v_mac_f32 v[vgprValuC+13], s[sgprAlpha+1], v40    // *= alpha ( Ci += Ai * Cr_backup )
v_mov_b32 v40, v[vgprValuC+14]                     // store Cr
v_mul_f32 v[vgprValuC+14], s[sgprAlpha], v[vgprValuC+14] // *= alpha ( Cr = Ar * Cr)
_v_mac_f32 v[vgprValuC+14], -s[sgprAlpha+1], v[vgprValuC+15] // *= alpha ( Cr += -Ai * Ci )
v_mul_f32 v[vgprValuC+15], s[sgprAlpha], v[vgprValuC+15] // *= alpha ( Ci = Ar * Ci)
_v_mac_f32 v[vgprValuC+15], s[sgprAlpha+1], v40    // *= alpha ( Ci += Ai * Cr_backup )
	;; [unrolled: 5-line block ×8, first 2 shown]

/* apply mask, calc new C and issue writes */

s_waitcnt vmcnt(3)                                 // wait C (interleaved) 3 = 4 - 0 + 0 - 1
_v_mac_f32 v[vgprValuC+12], v8, s[sgprBeta]        // finalSum Cr += old Cr * Br
_v_mac_f32 v[vgprValuC+12], v9, -s[sgprBeta+1]     // finalSum Cr += old Ci * -Bi
_v_mac_f32 v[vgprValuC+13], v9, s[sgprBeta]        // finalSum Ci += old Ci * Br
_v_mac_f32 v[vgprValuC+13], v8, s[sgprBeta+1]      // finalSum Ci += old Cr * Bi
_v_mac_f32 v[vgprValuC+14], v10, s[sgprBeta]       // finalSum Cr += old Cr * Br
_v_mac_f32 v[vgprValuC+14], v11, -s[sgprBeta+1]    // finalSum Cr += old Ci * -Bi
_v_mac_f32 v[vgprValuC+15], v11, s[sgprBeta]       // finalSum Ci += old Ci * Br
_v_mac_f32 v[vgprValuC+15], v10, s[sgprBeta+1]     // finalSum Ci += old Cr * Bi
s_mul_i32 s56, s[sgprStrideD1J], 104               // scale StrideD *= numRows(13) * bpe
s_add_u32  s[sgprSrdD+0], s[sgprSrdD+0], s56       // incToNextRow: gra SRD += inc(lower)
s_addc_u32  s[sgprSrdD+1], s[sgprSrdD+1], 0        // incToNextRow: gra SRD += inc(upper)
_buffer_store_b128 v[12:15], v6, s[sgprSrdD:sgprSrdD+3], 0, offen, offset:0,  nt // store D

s_waitcnt vmcnt(3)                                 // wait C (interleaved) 3 = 4 - 1 + 1 - 1
_v_mac_f32 v[vgprValuC+20], v16, s[sgprBeta]       // finalSum Cr += old Cr * Br
_v_mac_f32 v[vgprValuC+20], v17, -s[sgprBeta+1]    // finalSum Cr += old Ci * -Bi
_v_mac_f32 v[vgprValuC+21], v17, s[sgprBeta]       // finalSum Ci += old Ci * Br
_v_mac_f32 v[vgprValuC+21], v16, s[sgprBeta+1]     // finalSum Ci += old Cr * Bi
_v_mac_f32 v[vgprValuC+22], v18, s[sgprBeta]       // finalSum Cr += old Cr * Br
_v_mac_f32 v[vgprValuC+22], v19, -s[sgprBeta+1]    // finalSum Cr += old Ci * -Bi
_v_mac_f32 v[vgprValuC+23], v19, s[sgprBeta]       // finalSum Ci += old Ci * Br
_v_mac_f32 v[vgprValuC+23], v18, s[sgprBeta+1]     // finalSum Ci += old Cr * Bi
_buffer_store_b128 v[20:23], v6, s[sgprSrdD:sgprSrdD+3], 0, offen, offset:1024,  nt // store D

s_waitcnt vmcnt(3)                                 // wait C (interleaved) 3 = 4 - 2 + 2 - 1
_v_mac_f32 v[vgprValuC+28], v24, s[sgprBeta]       // finalSum Cr += old Cr * Br
_v_mac_f32 v[vgprValuC+28], v25, -s[sgprBeta+1]    // finalSum Cr += old Ci * -Bi
_v_mac_f32 v[vgprValuC+29], v25, s[sgprBeta]       // finalSum Ci += old Ci * Br
_v_mac_f32 v[vgprValuC+29], v24, s[sgprBeta+1]     // finalSum Ci += old Cr * Bi
_v_mac_f32 v[vgprValuC+30], v26, s[sgprBeta]       // finalSum Cr += old Cr * Br
_v_mac_f32 v[vgprValuC+30], v27, -s[sgprBeta+1]    // finalSum Cr += old Ci * -Bi
_v_mac_f32 v[vgprValuC+31], v27, s[sgprBeta]       // finalSum Ci += old Ci * Br
_v_mac_f32 v[vgprValuC+31], v26, s[sgprBeta+1]     // finalSum Ci += old Cr * Bi
s_lshl_b32  s56, s[sgprStrideD1J], 3               // incToNextRow: Scale by BPE
s_add_u32  s[sgprSrdD+0], s[sgprSrdD+0], s56       // incToNextRow: gra SRD += inc(lower)
s_addc_u32  s[sgprSrdD+1], s[sgprSrdD+1], 0        // incToNextRow: gra SRD += inc(upper)
_buffer_store_b128 v[28:31], v6, s[sgprSrdD:sgprSrdD+3], 0, offen, offset:0,  nt // store D

s_waitcnt vmcnt(3)                                 // wait C (interleaved) 3 = 4 - 3 + 3 - 1
_v_mac_f32 v[vgprValuC+36], v32, s[sgprBeta]       // finalSum Cr += old Cr * Br
_v_mac_f32 v[vgprValuC+36], v33, -s[sgprBeta+1]    // finalSum Cr += old Ci * -Bi
_v_mac_f32 v[vgprValuC+37], v33, s[sgprBeta]       // finalSum Ci += old Ci * Br
_v_mac_f32 v[vgprValuC+37], v32, s[sgprBeta+1]     // finalSum Ci += old Cr * Bi
_v_mac_f32 v[vgprValuC+38], v34, s[sgprBeta]       // finalSum Cr += old Cr * Br
_v_mac_f32 v[vgprValuC+38], v35, -s[sgprBeta+1]    // finalSum Cr += old Ci * -Bi
_v_mac_f32 v[vgprValuC+39], v35, s[sgprBeta]       // finalSum Ci += old Ci * Br
_v_mac_f32 v[vgprValuC+39], v34, s[sgprBeta+1]     // finalSum Ci += old Cr * Bi
_buffer_store_b128 v[36:39], v6, s[sgprSrdD:sgprSrdD+3], 0, offen, offset:1024,  nt // store D
s_nop 0                                            // 1 wait state required when next inst writes vgprs held by previous dwordx4 store inst
/* optSingleColVgpr=1 optSharedColVgpr=0 optSGPRUsage=BufferLoad_Mask optSrdIncForRow=1 */
s_sleep 3 // optimization: sync and wait
s_barrier

/******************************************/
/* Global Write Alpha Beta Batch #5 (d1,d0,vc1,vc0) = */
/*    (2,0,2,0:vw2); (2,1,2,0:vw2); (2,0,3,0:vw2); (2,1,3,0:vw2) */
/******************************************/

/* calc coords, apply mask, and issue loads (if necessary) */
/* (d1,vc1,d0,vc0)=(2,2,0,0) */
s_lshl_b32  s56, s[sgprStrideC1J], 3               // incToNextRow: Scale by BPE
s_add_u32  s[sgprSrdC+0], s[sgprSrdC+0], s56       // incToNextRow: gra SRD += inc(lower)
s_addc_u32  s[sgprSrdC+1], s[sgprSrdC+1], 0        // incToNextRow: gra SRD += inc(upper)
_buffer_load_b128 v[8:11], v7, s[sgprSrdC:sgprSrdC+3], 0, offen offset:0,  nt // load C for beta calc
/* (d1,vc1,d0,vc0)=(2,2,1,0) */
_buffer_load_b128 v[16:19], v7, s[sgprSrdC:sgprSrdC+3], 0, offen offset:1024,  nt // load C for beta calc
/* (d1,vc1,d0,vc0)=(2,3,0,0) */
s_lshl_b32  s56, s[sgprStrideC1J], 3               // incToNextRow: Scale by BPE
s_add_u32  s[sgprSrdC+0], s[sgprSrdC+0], s56       // incToNextRow: gra SRD += inc(lower)
s_addc_u32  s[sgprSrdC+1], s[sgprSrdC+1], 0        // incToNextRow: gra SRD += inc(upper)
_buffer_load_b128 v[24:27], v7, s[sgprSrdC:sgprSrdC+3], 0, offen offset:0,  nt // load C for beta calc
/* (d1,vc1,d0,vc0)=(2,3,1,0) */
_buffer_load_b128 v[32:35], v7, s[sgprSrdC:sgprSrdC+3], 0, offen offset:1024,  nt // load C for beta calc
s_sleep 3 // optimization: sync and wait
s_barrier
v_accvgpr_read_b32 v[vgprValuC+12], acc34 // copy acc to vreg[80]
v_accvgpr_read_b32 v[vgprValuC+13], acc146 // copy acc to vreg[81]
v_accvgpr_read_b32 v[vgprValuC+14], acc38 // copy acc to vreg[82]
v_accvgpr_read_b32 v[vgprValuC+15], acc150 // copy acc to vreg[83]
v_accvgpr_read_b32 v[vgprValuC+20], acc42 // copy acc to vreg[84]
v_accvgpr_read_b32 v[vgprValuC+21], acc154 // copy acc to vreg[85]
v_accvgpr_read_b32 v[vgprValuC+22], acc46 // copy acc to vreg[86]
v_accvgpr_read_b32 v[vgprValuC+23], acc158 // copy acc to vreg[87]
v_accvgpr_read_b32 v[vgprValuC+28], acc35 // copy acc to vreg[88]
v_accvgpr_read_b32 v[vgprValuC+29], acc147 // copy acc to vreg[89]
v_accvgpr_read_b32 v[vgprValuC+30], acc39 // copy acc to vreg[90]
v_accvgpr_read_b32 v[vgprValuC+31], acc151 // copy acc to vreg[91]
v_accvgpr_read_b32 v[vgprValuC+36], acc43 // copy acc to vreg[92]
v_accvgpr_read_b32 v[vgprValuC+37], acc155 // copy acc to vreg[93]
v_accvgpr_read_b32 v[vgprValuC+38], acc47 // copy acc to vreg[94]
v_accvgpr_read_b32 v[vgprValuC+39], acc159 // copy acc to vreg[95]
s_nop 1                                            // 2 wait states required before reading vgpr

/* rC *= alpha batchElements=[(2, 0, 2, 0), (2, 1, 2, 0), (2, 0, 3, 0), (2, 1, 3, 0)] */
v_mov_b32 v40, v[vgprValuC+12]                     // store Cr
v_mul_f32 v[vgprValuC+12], s[sgprAlpha], v[vgprValuC+12] // *= alpha ( Cr = Ar * Cr)
_v_mac_f32 v[vgprValuC+12], -s[sgprAlpha+1], v[vgprValuC+13] // *= alpha ( Cr += -Ai * Ci )
v_mul_f32 v[vgprValuC+13], s[sgprAlpha], v[vgprValuC+13] // *= alpha ( Ci = Ar * Ci)
_v_mac_f32 v[vgprValuC+13], s[sgprAlpha+1], v40    // *= alpha ( Ci += Ai * Cr_backup )
v_mov_b32 v40, v[vgprValuC+14]                     // store Cr
v_mul_f32 v[vgprValuC+14], s[sgprAlpha], v[vgprValuC+14] // *= alpha ( Cr = Ar * Cr)
_v_mac_f32 v[vgprValuC+14], -s[sgprAlpha+1], v[vgprValuC+15] // *= alpha ( Cr += -Ai * Ci )
v_mul_f32 v[vgprValuC+15], s[sgprAlpha], v[vgprValuC+15] // *= alpha ( Ci = Ar * Ci)
_v_mac_f32 v[vgprValuC+15], s[sgprAlpha+1], v40    // *= alpha ( Ci += Ai * Cr_backup )
	;; [unrolled: 5-line block ×8, first 2 shown]

/* apply mask, calc new C and issue writes */

s_waitcnt vmcnt(3)                                 // wait C (interleaved) 3 = 4 - 0 + 0 - 1
_v_mac_f32 v[vgprValuC+12], v8, s[sgprBeta]        // finalSum Cr += old Cr * Br
_v_mac_f32 v[vgprValuC+12], v9, -s[sgprBeta+1]     // finalSum Cr += old Ci * -Bi
_v_mac_f32 v[vgprValuC+13], v9, s[sgprBeta]        // finalSum Ci += old Ci * Br
_v_mac_f32 v[vgprValuC+13], v8, s[sgprBeta+1]      // finalSum Ci += old Cr * Bi
_v_mac_f32 v[vgprValuC+14], v10, s[sgprBeta]       // finalSum Cr += old Cr * Br
_v_mac_f32 v[vgprValuC+14], v11, -s[sgprBeta+1]    // finalSum Cr += old Ci * -Bi
_v_mac_f32 v[vgprValuC+15], v11, s[sgprBeta]       // finalSum Ci += old Ci * Br
_v_mac_f32 v[vgprValuC+15], v10, s[sgprBeta+1]     // finalSum Ci += old Cr * Bi
s_lshl_b32  s56, s[sgprStrideD1J], 3               // incToNextRow: Scale by BPE
s_add_u32  s[sgprSrdD+0], s[sgprSrdD+0], s56       // incToNextRow: gra SRD += inc(lower)
s_addc_u32  s[sgprSrdD+1], s[sgprSrdD+1], 0        // incToNextRow: gra SRD += inc(upper)
_buffer_store_b128 v[12:15], v6, s[sgprSrdD:sgprSrdD+3], 0, offen, offset:0,  nt // store D

s_waitcnt vmcnt(3)                                 // wait C (interleaved) 3 = 4 - 1 + 1 - 1
_v_mac_f32 v[vgprValuC+20], v16, s[sgprBeta]       // finalSum Cr += old Cr * Br
_v_mac_f32 v[vgprValuC+20], v17, -s[sgprBeta+1]    // finalSum Cr += old Ci * -Bi
_v_mac_f32 v[vgprValuC+21], v17, s[sgprBeta]       // finalSum Ci += old Ci * Br
_v_mac_f32 v[vgprValuC+21], v16, s[sgprBeta+1]     // finalSum Ci += old Cr * Bi
_v_mac_f32 v[vgprValuC+22], v18, s[sgprBeta]       // finalSum Cr += old Cr * Br
_v_mac_f32 v[vgprValuC+22], v19, -s[sgprBeta+1]    // finalSum Cr += old Ci * -Bi
_v_mac_f32 v[vgprValuC+23], v19, s[sgprBeta]       // finalSum Ci += old Ci * Br
_v_mac_f32 v[vgprValuC+23], v18, s[sgprBeta+1]     // finalSum Ci += old Cr * Bi
_buffer_store_b128 v[20:23], v6, s[sgprSrdD:sgprSrdD+3], 0, offen, offset:1024,  nt // store D

s_waitcnt vmcnt(3)                                 // wait C (interleaved) 3 = 4 - 2 + 2 - 1
_v_mac_f32 v[vgprValuC+28], v24, s[sgprBeta]       // finalSum Cr += old Cr * Br
_v_mac_f32 v[vgprValuC+28], v25, -s[sgprBeta+1]    // finalSum Cr += old Ci * -Bi
_v_mac_f32 v[vgprValuC+29], v25, s[sgprBeta]       // finalSum Ci += old Ci * Br
_v_mac_f32 v[vgprValuC+29], v24, s[sgprBeta+1]     // finalSum Ci += old Cr * Bi
_v_mac_f32 v[vgprValuC+30], v26, s[sgprBeta]       // finalSum Cr += old Cr * Br
_v_mac_f32 v[vgprValuC+30], v27, -s[sgprBeta+1]    // finalSum Cr += old Ci * -Bi
_v_mac_f32 v[vgprValuC+31], v27, s[sgprBeta]       // finalSum Ci += old Ci * Br
_v_mac_f32 v[vgprValuC+31], v26, s[sgprBeta+1]     // finalSum Ci += old Cr * Bi
s_lshl_b32  s56, s[sgprStrideD1J], 3               // incToNextRow: Scale by BPE
s_add_u32  s[sgprSrdD+0], s[sgprSrdD+0], s56       // incToNextRow: gra SRD += inc(lower)
s_addc_u32  s[sgprSrdD+1], s[sgprSrdD+1], 0        // incToNextRow: gra SRD += inc(upper)
_buffer_store_b128 v[28:31], v6, s[sgprSrdD:sgprSrdD+3], 0, offen, offset:0,  nt // store D

s_waitcnt vmcnt(3)                                 // wait C (interleaved) 3 = 4 - 3 + 3 - 1
_v_mac_f32 v[vgprValuC+36], v32, s[sgprBeta]       // finalSum Cr += old Cr * Br
_v_mac_f32 v[vgprValuC+36], v33, -s[sgprBeta+1]    // finalSum Cr += old Ci * -Bi
_v_mac_f32 v[vgprValuC+37], v33, s[sgprBeta]       // finalSum Ci += old Ci * Br
_v_mac_f32 v[vgprValuC+37], v32, s[sgprBeta+1]     // finalSum Ci += old Cr * Bi
_v_mac_f32 v[vgprValuC+38], v34, s[sgprBeta]       // finalSum Cr += old Cr * Br
_v_mac_f32 v[vgprValuC+38], v35, -s[sgprBeta+1]    // finalSum Cr += old Ci * -Bi
_v_mac_f32 v[vgprValuC+39], v35, s[sgprBeta]       // finalSum Ci += old Ci * Br
_v_mac_f32 v[vgprValuC+39], v34, s[sgprBeta+1]     // finalSum Ci += old Cr * Bi
_buffer_store_b128 v[36:39], v6, s[sgprSrdD:sgprSrdD+3], 0, offen, offset:1024,  nt // store D
s_nop 0                                            // 1 wait state required when next inst writes vgprs held by previous dwordx4 store inst
/* optSingleColVgpr=1 optSharedColVgpr=0 optSGPRUsage=BufferLoad_Mask optSrdIncForRow=1 */
s_sleep 3 // optimization: sync and wait
s_barrier

/******************************************/
/* Global Write Alpha Beta Batch #6 (d1,d0,vc1,vc0) = */
/*    (3,0,0,0:vw2); (3,1,0,0:vw2); (3,0,1,0:vw2); (3,1,1,0:vw2) */
/******************************************/

/* calc coords, apply mask, and issue loads (if necessary) */
/* (d1,vc1,d0,vc0)=(3,0,0,0) */
s_mul_i32 s56, s[sgprStrideC1J], 104               // scale StrideC *= numRows(13) * bpe
s_add_u32  s[sgprSrdC+0], s[sgprSrdC+0], s56       // incToNextRow: gra SRD += inc(lower)
s_addc_u32  s[sgprSrdC+1], s[sgprSrdC+1], 0        // incToNextRow: gra SRD += inc(upper)
_buffer_load_b128 v[8:11], v7, s[sgprSrdC:sgprSrdC+3], 0, offen offset:0,  nt // load C for beta calc
/* (d1,vc1,d0,vc0)=(3,0,1,0) */
_buffer_load_b128 v[16:19], v7, s[sgprSrdC:sgprSrdC+3], 0, offen offset:1024,  nt // load C for beta calc
/* (d1,vc1,d0,vc0)=(3,1,0,0) */
s_lshl_b32  s56, s[sgprStrideC1J], 3               // incToNextRow: Scale by BPE
s_add_u32  s[sgprSrdC+0], s[sgprSrdC+0], s56       // incToNextRow: gra SRD += inc(lower)
s_addc_u32  s[sgprSrdC+1], s[sgprSrdC+1], 0        // incToNextRow: gra SRD += inc(upper)
_buffer_load_b128 v[24:27], v7, s[sgprSrdC:sgprSrdC+3], 0, offen offset:0,  nt // load C for beta calc
/* (d1,vc1,d0,vc0)=(3,1,1,0) */
_buffer_load_b128 v[32:35], v7, s[sgprSrdC:sgprSrdC+3], 0, offen offset:1024,  nt // load C for beta calc
s_sleep 3 // optimization: sync and wait
s_barrier
v_accvgpr_read_b32 v[vgprValuC+12], acc48 // copy acc to vreg[96]
v_accvgpr_read_b32 v[vgprValuC+13], acc160 // copy acc to vreg[97]
v_accvgpr_read_b32 v[vgprValuC+14], acc52 // copy acc to vreg[98]
v_accvgpr_read_b32 v[vgprValuC+15], acc164 // copy acc to vreg[99]
v_accvgpr_read_b32 v[vgprValuC+20], acc56 // copy acc to vreg[100]
v_accvgpr_read_b32 v[vgprValuC+21], acc168 // copy acc to vreg[101]
v_accvgpr_read_b32 v[vgprValuC+22], acc60 // copy acc to vreg[102]
v_accvgpr_read_b32 v[vgprValuC+23], acc172 // copy acc to vreg[103]
v_accvgpr_read_b32 v[vgprValuC+28], acc49 // copy acc to vreg[104]
v_accvgpr_read_b32 v[vgprValuC+29], acc161 // copy acc to vreg[105]
v_accvgpr_read_b32 v[vgprValuC+30], acc53 // copy acc to vreg[106]
v_accvgpr_read_b32 v[vgprValuC+31], acc165 // copy acc to vreg[107]
v_accvgpr_read_b32 v[vgprValuC+36], acc57 // copy acc to vreg[108]
v_accvgpr_read_b32 v[vgprValuC+37], acc169 // copy acc to vreg[109]
v_accvgpr_read_b32 v[vgprValuC+38], acc61 // copy acc to vreg[110]
v_accvgpr_read_b32 v[vgprValuC+39], acc173 // copy acc to vreg[111]
s_nop 1                                            // 2 wait states required before reading vgpr

/* rC *= alpha batchElements=[(3, 0, 0, 0), (3, 1, 0, 0), (3, 0, 1, 0), (3, 1, 1, 0)] */
v_mov_b32 v40, v[vgprValuC+12]                     // store Cr
v_mul_f32 v[vgprValuC+12], s[sgprAlpha], v[vgprValuC+12] // *= alpha ( Cr = Ar * Cr)
_v_mac_f32 v[vgprValuC+12], -s[sgprAlpha+1], v[vgprValuC+13] // *= alpha ( Cr += -Ai * Ci )
v_mul_f32 v[vgprValuC+13], s[sgprAlpha], v[vgprValuC+13] // *= alpha ( Ci = Ar * Ci)
_v_mac_f32 v[vgprValuC+13], s[sgprAlpha+1], v40    // *= alpha ( Ci += Ai * Cr_backup )
v_mov_b32 v40, v[vgprValuC+14]                     // store Cr
v_mul_f32 v[vgprValuC+14], s[sgprAlpha], v[vgprValuC+14] // *= alpha ( Cr = Ar * Cr)
_v_mac_f32 v[vgprValuC+14], -s[sgprAlpha+1], v[vgprValuC+15] // *= alpha ( Cr += -Ai * Ci )
v_mul_f32 v[vgprValuC+15], s[sgprAlpha], v[vgprValuC+15] // *= alpha ( Ci = Ar * Ci)
_v_mac_f32 v[vgprValuC+15], s[sgprAlpha+1], v40    // *= alpha ( Ci += Ai * Cr_backup )
	;; [unrolled: 5-line block ×8, first 2 shown]

/* apply mask, calc new C and issue writes */

s_waitcnt vmcnt(3)                                 // wait C (interleaved) 3 = 4 - 0 + 0 - 1
_v_mac_f32 v[vgprValuC+12], v8, s[sgprBeta]        // finalSum Cr += old Cr * Br
_v_mac_f32 v[vgprValuC+12], v9, -s[sgprBeta+1]     // finalSum Cr += old Ci * -Bi
_v_mac_f32 v[vgprValuC+13], v9, s[sgprBeta]        // finalSum Ci += old Ci * Br
_v_mac_f32 v[vgprValuC+13], v8, s[sgprBeta+1]      // finalSum Ci += old Cr * Bi
_v_mac_f32 v[vgprValuC+14], v10, s[sgprBeta]       // finalSum Cr += old Cr * Br
_v_mac_f32 v[vgprValuC+14], v11, -s[sgprBeta+1]    // finalSum Cr += old Ci * -Bi
_v_mac_f32 v[vgprValuC+15], v11, s[sgprBeta]       // finalSum Ci += old Ci * Br
_v_mac_f32 v[vgprValuC+15], v10, s[sgprBeta+1]     // finalSum Ci += old Cr * Bi
s_mul_i32 s56, s[sgprStrideD1J], 104               // scale StrideD *= numRows(13) * bpe
s_add_u32  s[sgprSrdD+0], s[sgprSrdD+0], s56       // incToNextRow: gra SRD += inc(lower)
s_addc_u32  s[sgprSrdD+1], s[sgprSrdD+1], 0        // incToNextRow: gra SRD += inc(upper)
_buffer_store_b128 v[12:15], v6, s[sgprSrdD:sgprSrdD+3], 0, offen, offset:0,  nt // store D

s_waitcnt vmcnt(3)                                 // wait C (interleaved) 3 = 4 - 1 + 1 - 1
_v_mac_f32 v[vgprValuC+20], v16, s[sgprBeta]       // finalSum Cr += old Cr * Br
_v_mac_f32 v[vgprValuC+20], v17, -s[sgprBeta+1]    // finalSum Cr += old Ci * -Bi
_v_mac_f32 v[vgprValuC+21], v17, s[sgprBeta]       // finalSum Ci += old Ci * Br
_v_mac_f32 v[vgprValuC+21], v16, s[sgprBeta+1]     // finalSum Ci += old Cr * Bi
_v_mac_f32 v[vgprValuC+22], v18, s[sgprBeta]       // finalSum Cr += old Cr * Br
_v_mac_f32 v[vgprValuC+22], v19, -s[sgprBeta+1]    // finalSum Cr += old Ci * -Bi
_v_mac_f32 v[vgprValuC+23], v19, s[sgprBeta]       // finalSum Ci += old Ci * Br
_v_mac_f32 v[vgprValuC+23], v18, s[sgprBeta+1]     // finalSum Ci += old Cr * Bi
_buffer_store_b128 v[20:23], v6, s[sgprSrdD:sgprSrdD+3], 0, offen, offset:1024,  nt // store D

s_waitcnt vmcnt(3)                                 // wait C (interleaved) 3 = 4 - 2 + 2 - 1
_v_mac_f32 v[vgprValuC+28], v24, s[sgprBeta]       // finalSum Cr += old Cr * Br
_v_mac_f32 v[vgprValuC+28], v25, -s[sgprBeta+1]    // finalSum Cr += old Ci * -Bi
_v_mac_f32 v[vgprValuC+29], v25, s[sgprBeta]       // finalSum Ci += old Ci * Br
_v_mac_f32 v[vgprValuC+29], v24, s[sgprBeta+1]     // finalSum Ci += old Cr * Bi
_v_mac_f32 v[vgprValuC+30], v26, s[sgprBeta]       // finalSum Cr += old Cr * Br
_v_mac_f32 v[vgprValuC+30], v27, -s[sgprBeta+1]    // finalSum Cr += old Ci * -Bi
_v_mac_f32 v[vgprValuC+31], v27, s[sgprBeta]       // finalSum Ci += old Ci * Br
_v_mac_f32 v[vgprValuC+31], v26, s[sgprBeta+1]     // finalSum Ci += old Cr * Bi
s_lshl_b32  s56, s[sgprStrideD1J], 3               // incToNextRow: Scale by BPE
s_add_u32  s[sgprSrdD+0], s[sgprSrdD+0], s56       // incToNextRow: gra SRD += inc(lower)
s_addc_u32  s[sgprSrdD+1], s[sgprSrdD+1], 0        // incToNextRow: gra SRD += inc(upper)
_buffer_store_b128 v[28:31], v6, s[sgprSrdD:sgprSrdD+3], 0, offen, offset:0,  nt // store D

s_waitcnt vmcnt(3)                                 // wait C (interleaved) 3 = 4 - 3 + 3 - 1
_v_mac_f32 v[vgprValuC+36], v32, s[sgprBeta]       // finalSum Cr += old Cr * Br
_v_mac_f32 v[vgprValuC+36], v33, -s[sgprBeta+1]    // finalSum Cr += old Ci * -Bi
_v_mac_f32 v[vgprValuC+37], v33, s[sgprBeta]       // finalSum Ci += old Ci * Br
_v_mac_f32 v[vgprValuC+37], v32, s[sgprBeta+1]     // finalSum Ci += old Cr * Bi
_v_mac_f32 v[vgprValuC+38], v34, s[sgprBeta]       // finalSum Cr += old Cr * Br
_v_mac_f32 v[vgprValuC+38], v35, -s[sgprBeta+1]    // finalSum Cr += old Ci * -Bi
_v_mac_f32 v[vgprValuC+39], v35, s[sgprBeta]       // finalSum Ci += old Ci * Br
_v_mac_f32 v[vgprValuC+39], v34, s[sgprBeta+1]     // finalSum Ci += old Cr * Bi
_buffer_store_b128 v[36:39], v6, s[sgprSrdD:sgprSrdD+3], 0, offen, offset:1024,  nt // store D
s_nop 0                                            // 1 wait state required when next inst writes vgprs held by previous dwordx4 store inst
/* optSingleColVgpr=1 optSharedColVgpr=0 optSGPRUsage=BufferLoad_Mask optSrdIncForRow=1 */
s_sleep 3 // optimization: sync and wait
s_barrier

/******************************************/
/* Global Write Alpha Beta Batch #7 (d1,d0,vc1,vc0) = */
/*    (3,0,2,0:vw2); (3,1,2,0:vw2); (3,0,3,0:vw2); (3,1,3,0:vw2) */
/******************************************/

/* calc coords, apply mask, and issue loads (if necessary) */
/* (d1,vc1,d0,vc0)=(3,2,0,0) */
s_lshl_b32  s56, s[sgprStrideC1J], 3               // incToNextRow: Scale by BPE
s_add_u32  s[sgprSrdC+0], s[sgprSrdC+0], s56       // incToNextRow: gra SRD += inc(lower)
s_addc_u32  s[sgprSrdC+1], s[sgprSrdC+1], 0        // incToNextRow: gra SRD += inc(upper)
_buffer_load_b128 v[8:11], v7, s[sgprSrdC:sgprSrdC+3], 0, offen offset:0,  nt // load C for beta calc
/* (d1,vc1,d0,vc0)=(3,2,1,0) */
_buffer_load_b128 v[16:19], v7, s[sgprSrdC:sgprSrdC+3], 0, offen offset:1024,  nt // load C for beta calc
/* (d1,vc1,d0,vc0)=(3,3,0,0) */
s_lshl_b32  s56, s[sgprStrideC1J], 3               // incToNextRow: Scale by BPE
s_add_u32  s[sgprSrdC+0], s[sgprSrdC+0], s56       // incToNextRow: gra SRD += inc(lower)
s_addc_u32  s[sgprSrdC+1], s[sgprSrdC+1], 0        // incToNextRow: gra SRD += inc(upper)
_buffer_load_b128 v[24:27], v7, s[sgprSrdC:sgprSrdC+3], 0, offen offset:0,  nt // load C for beta calc
/* (d1,vc1,d0,vc0)=(3,3,1,0) */
_buffer_load_b128 v[32:35], v7, s[sgprSrdC:sgprSrdC+3], 0, offen offset:1024,  nt // load C for beta calc
s_sleep 3 // optimization: sync and wait
s_barrier
v_accvgpr_read_b32 v[vgprValuC+12], acc50 // copy acc to vreg[112]
v_accvgpr_read_b32 v[vgprValuC+13], acc162 // copy acc to vreg[113]
v_accvgpr_read_b32 v[vgprValuC+14], acc54 // copy acc to vreg[114]
v_accvgpr_read_b32 v[vgprValuC+15], acc166 // copy acc to vreg[115]
v_accvgpr_read_b32 v[vgprValuC+20], acc58 // copy acc to vreg[116]
v_accvgpr_read_b32 v[vgprValuC+21], acc170 // copy acc to vreg[117]
v_accvgpr_read_b32 v[vgprValuC+22], acc62 // copy acc to vreg[118]
v_accvgpr_read_b32 v[vgprValuC+23], acc174 // copy acc to vreg[119]
v_accvgpr_read_b32 v[vgprValuC+28], acc51 // copy acc to vreg[120]
v_accvgpr_read_b32 v[vgprValuC+29], acc163 // copy acc to vreg[121]
v_accvgpr_read_b32 v[vgprValuC+30], acc55 // copy acc to vreg[122]
v_accvgpr_read_b32 v[vgprValuC+31], acc167 // copy acc to vreg[123]
v_accvgpr_read_b32 v[vgprValuC+36], acc59 // copy acc to vreg[124]
v_accvgpr_read_b32 v[vgprValuC+37], acc171 // copy acc to vreg[125]
v_accvgpr_read_b32 v[vgprValuC+38], acc63 // copy acc to vreg[126]
v_accvgpr_read_b32 v[vgprValuC+39], acc175 // copy acc to vreg[127]
s_nop 1                                            // 2 wait states required before reading vgpr

/* rC *= alpha batchElements=[(3, 0, 2, 0), (3, 1, 2, 0), (3, 0, 3, 0), (3, 1, 3, 0)] */
v_mov_b32 v40, v[vgprValuC+12]                     // store Cr
v_mul_f32 v[vgprValuC+12], s[sgprAlpha], v[vgprValuC+12] // *= alpha ( Cr = Ar * Cr)
_v_mac_f32 v[vgprValuC+12], -s[sgprAlpha+1], v[vgprValuC+13] // *= alpha ( Cr += -Ai * Ci )
v_mul_f32 v[vgprValuC+13], s[sgprAlpha], v[vgprValuC+13] // *= alpha ( Ci = Ar * Ci)
_v_mac_f32 v[vgprValuC+13], s[sgprAlpha+1], v40    // *= alpha ( Ci += Ai * Cr_backup )
v_mov_b32 v40, v[vgprValuC+14]                     // store Cr
v_mul_f32 v[vgprValuC+14], s[sgprAlpha], v[vgprValuC+14] // *= alpha ( Cr = Ar * Cr)
_v_mac_f32 v[vgprValuC+14], -s[sgprAlpha+1], v[vgprValuC+15] // *= alpha ( Cr += -Ai * Ci )
v_mul_f32 v[vgprValuC+15], s[sgprAlpha], v[vgprValuC+15] // *= alpha ( Ci = Ar * Ci)
_v_mac_f32 v[vgprValuC+15], s[sgprAlpha+1], v40    // *= alpha ( Ci += Ai * Cr_backup )
	;; [unrolled: 5-line block ×8, first 2 shown]

/* apply mask, calc new C and issue writes */

s_waitcnt vmcnt(3)                                 // wait C (interleaved) 3 = 4 - 0 + 0 - 1
_v_mac_f32 v[vgprValuC+12], v8, s[sgprBeta]        // finalSum Cr += old Cr * Br
_v_mac_f32 v[vgprValuC+12], v9, -s[sgprBeta+1]     // finalSum Cr += old Ci * -Bi
_v_mac_f32 v[vgprValuC+13], v9, s[sgprBeta]        // finalSum Ci += old Ci * Br
_v_mac_f32 v[vgprValuC+13], v8, s[sgprBeta+1]      // finalSum Ci += old Cr * Bi
_v_mac_f32 v[vgprValuC+14], v10, s[sgprBeta]       // finalSum Cr += old Cr * Br
_v_mac_f32 v[vgprValuC+14], v11, -s[sgprBeta+1]    // finalSum Cr += old Ci * -Bi
_v_mac_f32 v[vgprValuC+15], v11, s[sgprBeta]       // finalSum Ci += old Ci * Br
_v_mac_f32 v[vgprValuC+15], v10, s[sgprBeta+1]     // finalSum Ci += old Cr * Bi
s_lshl_b32  s56, s[sgprStrideD1J], 3               // incToNextRow: Scale by BPE
s_add_u32  s[sgprSrdD+0], s[sgprSrdD+0], s56       // incToNextRow: gra SRD += inc(lower)
s_addc_u32  s[sgprSrdD+1], s[sgprSrdD+1], 0        // incToNextRow: gra SRD += inc(upper)
_buffer_store_b128 v[12:15], v6, s[sgprSrdD:sgprSrdD+3], 0, offen, offset:0,  nt // store D

s_waitcnt vmcnt(3)                                 // wait C (interleaved) 3 = 4 - 1 + 1 - 1
_v_mac_f32 v[vgprValuC+20], v16, s[sgprBeta]       // finalSum Cr += old Cr * Br
_v_mac_f32 v[vgprValuC+20], v17, -s[sgprBeta+1]    // finalSum Cr += old Ci * -Bi
_v_mac_f32 v[vgprValuC+21], v17, s[sgprBeta]       // finalSum Ci += old Ci * Br
_v_mac_f32 v[vgprValuC+21], v16, s[sgprBeta+1]     // finalSum Ci += old Cr * Bi
_v_mac_f32 v[vgprValuC+22], v18, s[sgprBeta]       // finalSum Cr += old Cr * Br
_v_mac_f32 v[vgprValuC+22], v19, -s[sgprBeta+1]    // finalSum Cr += old Ci * -Bi
_v_mac_f32 v[vgprValuC+23], v19, s[sgprBeta]       // finalSum Ci += old Ci * Br
_v_mac_f32 v[vgprValuC+23], v18, s[sgprBeta+1]     // finalSum Ci += old Cr * Bi
_buffer_store_b128 v[20:23], v6, s[sgprSrdD:sgprSrdD+3], 0, offen, offset:1024,  nt // store D

s_waitcnt vmcnt(3)                                 // wait C (interleaved) 3 = 4 - 2 + 2 - 1
_v_mac_f32 v[vgprValuC+28], v24, s[sgprBeta]       // finalSum Cr += old Cr * Br
_v_mac_f32 v[vgprValuC+28], v25, -s[sgprBeta+1]    // finalSum Cr += old Ci * -Bi
_v_mac_f32 v[vgprValuC+29], v25, s[sgprBeta]       // finalSum Ci += old Ci * Br
_v_mac_f32 v[vgprValuC+29], v24, s[sgprBeta+1]     // finalSum Ci += old Cr * Bi
_v_mac_f32 v[vgprValuC+30], v26, s[sgprBeta]       // finalSum Cr += old Cr * Br
_v_mac_f32 v[vgprValuC+30], v27, -s[sgprBeta+1]    // finalSum Cr += old Ci * -Bi
_v_mac_f32 v[vgprValuC+31], v27, s[sgprBeta]       // finalSum Ci += old Ci * Br
_v_mac_f32 v[vgprValuC+31], v26, s[sgprBeta+1]     // finalSum Ci += old Cr * Bi
s_lshl_b32  s56, s[sgprStrideD1J], 3               // incToNextRow: Scale by BPE
s_add_u32  s[sgprSrdD+0], s[sgprSrdD+0], s56       // incToNextRow: gra SRD += inc(lower)
s_addc_u32  s[sgprSrdD+1], s[sgprSrdD+1], 0        // incToNextRow: gra SRD += inc(upper)
_buffer_store_b128 v[28:31], v6, s[sgprSrdD:sgprSrdD+3], 0, offen, offset:0,  nt // store D

s_waitcnt vmcnt(3)                                 // wait C (interleaved) 3 = 4 - 3 + 3 - 1
_v_mac_f32 v[vgprValuC+36], v32, s[sgprBeta]       // finalSum Cr += old Cr * Br
_v_mac_f32 v[vgprValuC+36], v33, -s[sgprBeta+1]    // finalSum Cr += old Ci * -Bi
_v_mac_f32 v[vgprValuC+37], v33, s[sgprBeta]       // finalSum Ci += old Ci * Br
_v_mac_f32 v[vgprValuC+37], v32, s[sgprBeta+1]     // finalSum Ci += old Cr * Bi
_v_mac_f32 v[vgprValuC+38], v34, s[sgprBeta]       // finalSum Cr += old Cr * Br
_v_mac_f32 v[vgprValuC+38], v35, -s[sgprBeta+1]    // finalSum Cr += old Ci * -Bi
_v_mac_f32 v[vgprValuC+39], v35, s[sgprBeta]       // finalSum Ci += old Ci * Br
_v_mac_f32 v[vgprValuC+39], v34, s[sgprBeta+1]     // finalSum Ci += old Cr * Bi
_buffer_store_b128 v[36:39], v6, s[sgprSrdD:sgprSrdD+3], 0, offen, offset:1024,  nt // store D
s_nop 0                                            // 1 wait state required when next inst writes vgprs held by previous dwordx4 store inst
/* optSingleColVgpr=1 optSharedColVgpr=0 optSGPRUsage=BufferLoad_Mask optSrdIncForRow=1 */
s_sleep 3 // optimization: sync and wait
s_barrier

/******************************************/
/* Global Write Alpha Beta Batch #8 (d1,d0,vc1,vc0) = */
/*    (4,0,0,0:vw2); (4,1,0,0:vw2); (4,0,1,0:vw2); (4,1,1,0:vw2) */
/******************************************/

/* calc coords, apply mask, and issue loads (if necessary) */
/* (d1,vc1,d0,vc0)=(4,0,0,0) */
s_mul_i32 s56, s[sgprStrideC1J], 104               // scale StrideC *= numRows(13) * bpe
s_add_u32  s[sgprSrdC+0], s[sgprSrdC+0], s56       // incToNextRow: gra SRD += inc(lower)
s_addc_u32  s[sgprSrdC+1], s[sgprSrdC+1], 0        // incToNextRow: gra SRD += inc(upper)
_buffer_load_b128 v[8:11], v7, s[sgprSrdC:sgprSrdC+3], 0, offen offset:0,  nt // load C for beta calc
/* (d1,vc1,d0,vc0)=(4,0,1,0) */
_buffer_load_b128 v[16:19], v7, s[sgprSrdC:sgprSrdC+3], 0, offen offset:1024,  nt // load C for beta calc
/* (d1,vc1,d0,vc0)=(4,1,0,0) */
s_lshl_b32  s56, s[sgprStrideC1J], 3               // incToNextRow: Scale by BPE
s_add_u32  s[sgprSrdC+0], s[sgprSrdC+0], s56       // incToNextRow: gra SRD += inc(lower)
s_addc_u32  s[sgprSrdC+1], s[sgprSrdC+1], 0        // incToNextRow: gra SRD += inc(upper)
_buffer_load_b128 v[24:27], v7, s[sgprSrdC:sgprSrdC+3], 0, offen offset:0,  nt // load C for beta calc
/* (d1,vc1,d0,vc0)=(4,1,1,0) */
_buffer_load_b128 v[32:35], v7, s[sgprSrdC:sgprSrdC+3], 0, offen offset:1024,  nt // load C for beta calc
s_sleep 3 // optimization: sync and wait
s_barrier
v_accvgpr_read_b32 v[vgprValuC+12], acc64 // copy acc to vreg[128]
v_accvgpr_read_b32 v[vgprValuC+13], acc176 // copy acc to vreg[129]
v_accvgpr_read_b32 v[vgprValuC+14], acc68 // copy acc to vreg[130]
v_accvgpr_read_b32 v[vgprValuC+15], acc180 // copy acc to vreg[131]
v_accvgpr_read_b32 v[vgprValuC+20], acc72 // copy acc to vreg[132]
v_accvgpr_read_b32 v[vgprValuC+21], acc184 // copy acc to vreg[133]
v_accvgpr_read_b32 v[vgprValuC+22], acc76 // copy acc to vreg[134]
v_accvgpr_read_b32 v[vgprValuC+23], acc188 // copy acc to vreg[135]
v_accvgpr_read_b32 v[vgprValuC+28], acc65 // copy acc to vreg[136]
v_accvgpr_read_b32 v[vgprValuC+29], acc177 // copy acc to vreg[137]
v_accvgpr_read_b32 v[vgprValuC+30], acc69 // copy acc to vreg[138]
v_accvgpr_read_b32 v[vgprValuC+31], acc181 // copy acc to vreg[139]
v_accvgpr_read_b32 v[vgprValuC+36], acc73 // copy acc to vreg[140]
v_accvgpr_read_b32 v[vgprValuC+37], acc185 // copy acc to vreg[141]
v_accvgpr_read_b32 v[vgprValuC+38], acc77 // copy acc to vreg[142]
v_accvgpr_read_b32 v[vgprValuC+39], acc189 // copy acc to vreg[143]
s_nop 1                                            // 2 wait states required before reading vgpr

/* rC *= alpha batchElements=[(4, 0, 0, 0), (4, 1, 0, 0), (4, 0, 1, 0), (4, 1, 1, 0)] */
v_mov_b32 v40, v[vgprValuC+12]                     // store Cr
v_mul_f32 v[vgprValuC+12], s[sgprAlpha], v[vgprValuC+12] // *= alpha ( Cr = Ar * Cr)
_v_mac_f32 v[vgprValuC+12], -s[sgprAlpha+1], v[vgprValuC+13] // *= alpha ( Cr += -Ai * Ci )
v_mul_f32 v[vgprValuC+13], s[sgprAlpha], v[vgprValuC+13] // *= alpha ( Ci = Ar * Ci)
_v_mac_f32 v[vgprValuC+13], s[sgprAlpha+1], v40    // *= alpha ( Ci += Ai * Cr_backup )
v_mov_b32 v40, v[vgprValuC+14]                     // store Cr
v_mul_f32 v[vgprValuC+14], s[sgprAlpha], v[vgprValuC+14] // *= alpha ( Cr = Ar * Cr)
_v_mac_f32 v[vgprValuC+14], -s[sgprAlpha+1], v[vgprValuC+15] // *= alpha ( Cr += -Ai * Ci )
v_mul_f32 v[vgprValuC+15], s[sgprAlpha], v[vgprValuC+15] // *= alpha ( Ci = Ar * Ci)
_v_mac_f32 v[vgprValuC+15], s[sgprAlpha+1], v40    // *= alpha ( Ci += Ai * Cr_backup )
	;; [unrolled: 5-line block ×8, first 2 shown]

/* apply mask, calc new C and issue writes */

s_waitcnt vmcnt(3)                                 // wait C (interleaved) 3 = 4 - 0 + 0 - 1
_v_mac_f32 v[vgprValuC+12], v8, s[sgprBeta]        // finalSum Cr += old Cr * Br
_v_mac_f32 v[vgprValuC+12], v9, -s[sgprBeta+1]     // finalSum Cr += old Ci * -Bi
_v_mac_f32 v[vgprValuC+13], v9, s[sgprBeta]        // finalSum Ci += old Ci * Br
_v_mac_f32 v[vgprValuC+13], v8, s[sgprBeta+1]      // finalSum Ci += old Cr * Bi
_v_mac_f32 v[vgprValuC+14], v10, s[sgprBeta]       // finalSum Cr += old Cr * Br
_v_mac_f32 v[vgprValuC+14], v11, -s[sgprBeta+1]    // finalSum Cr += old Ci * -Bi
_v_mac_f32 v[vgprValuC+15], v11, s[sgprBeta]       // finalSum Ci += old Ci * Br
_v_mac_f32 v[vgprValuC+15], v10, s[sgprBeta+1]     // finalSum Ci += old Cr * Bi
s_mul_i32 s56, s[sgprStrideD1J], 104               // scale StrideD *= numRows(13) * bpe
s_add_u32  s[sgprSrdD+0], s[sgprSrdD+0], s56       // incToNextRow: gra SRD += inc(lower)
s_addc_u32  s[sgprSrdD+1], s[sgprSrdD+1], 0        // incToNextRow: gra SRD += inc(upper)
_buffer_store_b128 v[12:15], v6, s[sgprSrdD:sgprSrdD+3], 0, offen, offset:0,  nt // store D

s_waitcnt vmcnt(3)                                 // wait C (interleaved) 3 = 4 - 1 + 1 - 1
_v_mac_f32 v[vgprValuC+20], v16, s[sgprBeta]       // finalSum Cr += old Cr * Br
_v_mac_f32 v[vgprValuC+20], v17, -s[sgprBeta+1]    // finalSum Cr += old Ci * -Bi
_v_mac_f32 v[vgprValuC+21], v17, s[sgprBeta]       // finalSum Ci += old Ci * Br
_v_mac_f32 v[vgprValuC+21], v16, s[sgprBeta+1]     // finalSum Ci += old Cr * Bi
_v_mac_f32 v[vgprValuC+22], v18, s[sgprBeta]       // finalSum Cr += old Cr * Br
_v_mac_f32 v[vgprValuC+22], v19, -s[sgprBeta+1]    // finalSum Cr += old Ci * -Bi
_v_mac_f32 v[vgprValuC+23], v19, s[sgprBeta]       // finalSum Ci += old Ci * Br
_v_mac_f32 v[vgprValuC+23], v18, s[sgprBeta+1]     // finalSum Ci += old Cr * Bi
_buffer_store_b128 v[20:23], v6, s[sgprSrdD:sgprSrdD+3], 0, offen, offset:1024,  nt // store D

s_waitcnt vmcnt(3)                                 // wait C (interleaved) 3 = 4 - 2 + 2 - 1
_v_mac_f32 v[vgprValuC+28], v24, s[sgprBeta]       // finalSum Cr += old Cr * Br
_v_mac_f32 v[vgprValuC+28], v25, -s[sgprBeta+1]    // finalSum Cr += old Ci * -Bi
_v_mac_f32 v[vgprValuC+29], v25, s[sgprBeta]       // finalSum Ci += old Ci * Br
_v_mac_f32 v[vgprValuC+29], v24, s[sgprBeta+1]     // finalSum Ci += old Cr * Bi
_v_mac_f32 v[vgprValuC+30], v26, s[sgprBeta]       // finalSum Cr += old Cr * Br
_v_mac_f32 v[vgprValuC+30], v27, -s[sgprBeta+1]    // finalSum Cr += old Ci * -Bi
_v_mac_f32 v[vgprValuC+31], v27, s[sgprBeta]       // finalSum Ci += old Ci * Br
_v_mac_f32 v[vgprValuC+31], v26, s[sgprBeta+1]     // finalSum Ci += old Cr * Bi
s_lshl_b32  s56, s[sgprStrideD1J], 3               // incToNextRow: Scale by BPE
s_add_u32  s[sgprSrdD+0], s[sgprSrdD+0], s56       // incToNextRow: gra SRD += inc(lower)
s_addc_u32  s[sgprSrdD+1], s[sgprSrdD+1], 0        // incToNextRow: gra SRD += inc(upper)
_buffer_store_b128 v[28:31], v6, s[sgprSrdD:sgprSrdD+3], 0, offen, offset:0,  nt // store D

s_waitcnt vmcnt(3)                                 // wait C (interleaved) 3 = 4 - 3 + 3 - 1
_v_mac_f32 v[vgprValuC+36], v32, s[sgprBeta]       // finalSum Cr += old Cr * Br
_v_mac_f32 v[vgprValuC+36], v33, -s[sgprBeta+1]    // finalSum Cr += old Ci * -Bi
_v_mac_f32 v[vgprValuC+37], v33, s[sgprBeta]       // finalSum Ci += old Ci * Br
_v_mac_f32 v[vgprValuC+37], v32, s[sgprBeta+1]     // finalSum Ci += old Cr * Bi
_v_mac_f32 v[vgprValuC+38], v34, s[sgprBeta]       // finalSum Cr += old Cr * Br
_v_mac_f32 v[vgprValuC+38], v35, -s[sgprBeta+1]    // finalSum Cr += old Ci * -Bi
_v_mac_f32 v[vgprValuC+39], v35, s[sgprBeta]       // finalSum Ci += old Ci * Br
_v_mac_f32 v[vgprValuC+39], v34, s[sgprBeta+1]     // finalSum Ci += old Cr * Bi
_buffer_store_b128 v[36:39], v6, s[sgprSrdD:sgprSrdD+3], 0, offen, offset:1024,  nt // store D
s_nop 0                                            // 1 wait state required when next inst writes vgprs held by previous dwordx4 store inst
/* optSingleColVgpr=1 optSharedColVgpr=0 optSGPRUsage=BufferLoad_Mask optSrdIncForRow=1 */
s_sleep 3 // optimization: sync and wait
s_barrier

/******************************************/
/* Global Write Alpha Beta Batch #9 (d1,d0,vc1,vc0) = */
/*    (4,0,2,0:vw2); (4,1,2,0:vw2); (4,0,3,0:vw2); (4,1,3,0:vw2) */
/******************************************/

/* calc coords, apply mask, and issue loads (if necessary) */
/* (d1,vc1,d0,vc0)=(4,2,0,0) */
s_lshl_b32  s56, s[sgprStrideC1J], 3               // incToNextRow: Scale by BPE
s_add_u32  s[sgprSrdC+0], s[sgprSrdC+0], s56       // incToNextRow: gra SRD += inc(lower)
s_addc_u32  s[sgprSrdC+1], s[sgprSrdC+1], 0        // incToNextRow: gra SRD += inc(upper)
_buffer_load_b128 v[8:11], v7, s[sgprSrdC:sgprSrdC+3], 0, offen offset:0,  nt // load C for beta calc
/* (d1,vc1,d0,vc0)=(4,2,1,0) */
_buffer_load_b128 v[16:19], v7, s[sgprSrdC:sgprSrdC+3], 0, offen offset:1024,  nt // load C for beta calc
/* (d1,vc1,d0,vc0)=(4,3,0,0) */
s_lshl_b32  s56, s[sgprStrideC1J], 3               // incToNextRow: Scale by BPE
s_add_u32  s[sgprSrdC+0], s[sgprSrdC+0], s56       // incToNextRow: gra SRD += inc(lower)
s_addc_u32  s[sgprSrdC+1], s[sgprSrdC+1], 0        // incToNextRow: gra SRD += inc(upper)
_buffer_load_b128 v[24:27], v7, s[sgprSrdC:sgprSrdC+3], 0, offen offset:0,  nt // load C for beta calc
/* (d1,vc1,d0,vc0)=(4,3,1,0) */
_buffer_load_b128 v[32:35], v7, s[sgprSrdC:sgprSrdC+3], 0, offen offset:1024,  nt // load C for beta calc
s_sleep 3 // optimization: sync and wait
s_barrier
v_accvgpr_read_b32 v[vgprValuC+12], acc66 // copy acc to vreg[144]
v_accvgpr_read_b32 v[vgprValuC+13], acc178 // copy acc to vreg[145]
v_accvgpr_read_b32 v[vgprValuC+14], acc70 // copy acc to vreg[146]
v_accvgpr_read_b32 v[vgprValuC+15], acc182 // copy acc to vreg[147]
v_accvgpr_read_b32 v[vgprValuC+20], acc74 // copy acc to vreg[148]
v_accvgpr_read_b32 v[vgprValuC+21], acc186 // copy acc to vreg[149]
v_accvgpr_read_b32 v[vgprValuC+22], acc78 // copy acc to vreg[150]
v_accvgpr_read_b32 v[vgprValuC+23], acc190 // copy acc to vreg[151]
v_accvgpr_read_b32 v[vgprValuC+28], acc67 // copy acc to vreg[152]
v_accvgpr_read_b32 v[vgprValuC+29], acc179 // copy acc to vreg[153]
v_accvgpr_read_b32 v[vgprValuC+30], acc71 // copy acc to vreg[154]
v_accvgpr_read_b32 v[vgprValuC+31], acc183 // copy acc to vreg[155]
v_accvgpr_read_b32 v[vgprValuC+36], acc75 // copy acc to vreg[156]
v_accvgpr_read_b32 v[vgprValuC+37], acc187 // copy acc to vreg[157]
v_accvgpr_read_b32 v[vgprValuC+38], acc79 // copy acc to vreg[158]
v_accvgpr_read_b32 v[vgprValuC+39], acc191 // copy acc to vreg[159]
s_nop 1                                            // 2 wait states required before reading vgpr

/* rC *= alpha batchElements=[(4, 0, 2, 0), (4, 1, 2, 0), (4, 0, 3, 0), (4, 1, 3, 0)] */
v_mov_b32 v40, v[vgprValuC+12]                     // store Cr
v_mul_f32 v[vgprValuC+12], s[sgprAlpha], v[vgprValuC+12] // *= alpha ( Cr = Ar * Cr)
_v_mac_f32 v[vgprValuC+12], -s[sgprAlpha+1], v[vgprValuC+13] // *= alpha ( Cr += -Ai * Ci )
v_mul_f32 v[vgprValuC+13], s[sgprAlpha], v[vgprValuC+13] // *= alpha ( Ci = Ar * Ci)
_v_mac_f32 v[vgprValuC+13], s[sgprAlpha+1], v40    // *= alpha ( Ci += Ai * Cr_backup )
v_mov_b32 v40, v[vgprValuC+14]                     // store Cr
v_mul_f32 v[vgprValuC+14], s[sgprAlpha], v[vgprValuC+14] // *= alpha ( Cr = Ar * Cr)
_v_mac_f32 v[vgprValuC+14], -s[sgprAlpha+1], v[vgprValuC+15] // *= alpha ( Cr += -Ai * Ci )
v_mul_f32 v[vgprValuC+15], s[sgprAlpha], v[vgprValuC+15] // *= alpha ( Ci = Ar * Ci)
_v_mac_f32 v[vgprValuC+15], s[sgprAlpha+1], v40    // *= alpha ( Ci += Ai * Cr_backup )
	;; [unrolled: 5-line block ×8, first 2 shown]

/* apply mask, calc new C and issue writes */

s_waitcnt vmcnt(3)                                 // wait C (interleaved) 3 = 4 - 0 + 0 - 1
_v_mac_f32 v[vgprValuC+12], v8, s[sgprBeta]        // finalSum Cr += old Cr * Br
_v_mac_f32 v[vgprValuC+12], v9, -s[sgprBeta+1]     // finalSum Cr += old Ci * -Bi
_v_mac_f32 v[vgprValuC+13], v9, s[sgprBeta]        // finalSum Ci += old Ci * Br
_v_mac_f32 v[vgprValuC+13], v8, s[sgprBeta+1]      // finalSum Ci += old Cr * Bi
_v_mac_f32 v[vgprValuC+14], v10, s[sgprBeta]       // finalSum Cr += old Cr * Br
_v_mac_f32 v[vgprValuC+14], v11, -s[sgprBeta+1]    // finalSum Cr += old Ci * -Bi
_v_mac_f32 v[vgprValuC+15], v11, s[sgprBeta]       // finalSum Ci += old Ci * Br
_v_mac_f32 v[vgprValuC+15], v10, s[sgprBeta+1]     // finalSum Ci += old Cr * Bi
s_lshl_b32  s56, s[sgprStrideD1J], 3               // incToNextRow: Scale by BPE
s_add_u32  s[sgprSrdD+0], s[sgprSrdD+0], s56       // incToNextRow: gra SRD += inc(lower)
s_addc_u32  s[sgprSrdD+1], s[sgprSrdD+1], 0        // incToNextRow: gra SRD += inc(upper)
_buffer_store_b128 v[12:15], v6, s[sgprSrdD:sgprSrdD+3], 0, offen, offset:0,  nt // store D

s_waitcnt vmcnt(3)                                 // wait C (interleaved) 3 = 4 - 1 + 1 - 1
_v_mac_f32 v[vgprValuC+20], v16, s[sgprBeta]       // finalSum Cr += old Cr * Br
_v_mac_f32 v[vgprValuC+20], v17, -s[sgprBeta+1]    // finalSum Cr += old Ci * -Bi
_v_mac_f32 v[vgprValuC+21], v17, s[sgprBeta]       // finalSum Ci += old Ci * Br
_v_mac_f32 v[vgprValuC+21], v16, s[sgprBeta+1]     // finalSum Ci += old Cr * Bi
_v_mac_f32 v[vgprValuC+22], v18, s[sgprBeta]       // finalSum Cr += old Cr * Br
_v_mac_f32 v[vgprValuC+22], v19, -s[sgprBeta+1]    // finalSum Cr += old Ci * -Bi
_v_mac_f32 v[vgprValuC+23], v19, s[sgprBeta]       // finalSum Ci += old Ci * Br
_v_mac_f32 v[vgprValuC+23], v18, s[sgprBeta+1]     // finalSum Ci += old Cr * Bi
_buffer_store_b128 v[20:23], v6, s[sgprSrdD:sgprSrdD+3], 0, offen, offset:1024,  nt // store D

s_waitcnt vmcnt(3)                                 // wait C (interleaved) 3 = 4 - 2 + 2 - 1
_v_mac_f32 v[vgprValuC+28], v24, s[sgprBeta]       // finalSum Cr += old Cr * Br
_v_mac_f32 v[vgprValuC+28], v25, -s[sgprBeta+1]    // finalSum Cr += old Ci * -Bi
_v_mac_f32 v[vgprValuC+29], v25, s[sgprBeta]       // finalSum Ci += old Ci * Br
_v_mac_f32 v[vgprValuC+29], v24, s[sgprBeta+1]     // finalSum Ci += old Cr * Bi
_v_mac_f32 v[vgprValuC+30], v26, s[sgprBeta]       // finalSum Cr += old Cr * Br
_v_mac_f32 v[vgprValuC+30], v27, -s[sgprBeta+1]    // finalSum Cr += old Ci * -Bi
_v_mac_f32 v[vgprValuC+31], v27, s[sgprBeta]       // finalSum Ci += old Ci * Br
_v_mac_f32 v[vgprValuC+31], v26, s[sgprBeta+1]     // finalSum Ci += old Cr * Bi
s_lshl_b32  s56, s[sgprStrideD1J], 3               // incToNextRow: Scale by BPE
s_add_u32  s[sgprSrdD+0], s[sgprSrdD+0], s56       // incToNextRow: gra SRD += inc(lower)
s_addc_u32  s[sgprSrdD+1], s[sgprSrdD+1], 0        // incToNextRow: gra SRD += inc(upper)
_buffer_store_b128 v[28:31], v6, s[sgprSrdD:sgprSrdD+3], 0, offen, offset:0,  nt // store D

s_waitcnt vmcnt(3)                                 // wait C (interleaved) 3 = 4 - 3 + 3 - 1
_v_mac_f32 v[vgprValuC+36], v32, s[sgprBeta]       // finalSum Cr += old Cr * Br
_v_mac_f32 v[vgprValuC+36], v33, -s[sgprBeta+1]    // finalSum Cr += old Ci * -Bi
_v_mac_f32 v[vgprValuC+37], v33, s[sgprBeta]       // finalSum Ci += old Ci * Br
_v_mac_f32 v[vgprValuC+37], v32, s[sgprBeta+1]     // finalSum Ci += old Cr * Bi
_v_mac_f32 v[vgprValuC+38], v34, s[sgprBeta]       // finalSum Cr += old Cr * Br
_v_mac_f32 v[vgprValuC+38], v35, -s[sgprBeta+1]    // finalSum Cr += old Ci * -Bi
_v_mac_f32 v[vgprValuC+39], v35, s[sgprBeta]       // finalSum Ci += old Ci * Br
_v_mac_f32 v[vgprValuC+39], v34, s[sgprBeta+1]     // finalSum Ci += old Cr * Bi
_buffer_store_b128 v[36:39], v6, s[sgprSrdD:sgprSrdD+3], 0, offen, offset:1024,  nt // store D
s_nop 0                                            // 1 wait state required when next inst writes vgprs held by previous dwordx4 store inst
/* optSingleColVgpr=1 optSharedColVgpr=0 optSGPRUsage=BufferLoad_Mask optSrdIncForRow=1 */
s_sleep 3 // optimization: sync and wait
s_barrier

/******************************************/
/* Global Write Alpha Beta Batch #10 (d1,d0,vc1,vc0) = */
/*    (5,0,0,0:vw2); (5,1,0,0:vw2); (5,0,1,0:vw2); (5,1,1,0:vw2) */
/******************************************/

/* calc coords, apply mask, and issue loads (if necessary) */
/* (d1,vc1,d0,vc0)=(5,0,0,0) */
s_mul_i32 s56, s[sgprStrideC1J], 104               // scale StrideC *= numRows(13) * bpe
s_add_u32  s[sgprSrdC+0], s[sgprSrdC+0], s56       // incToNextRow: gra SRD += inc(lower)
s_addc_u32  s[sgprSrdC+1], s[sgprSrdC+1], 0        // incToNextRow: gra SRD += inc(upper)
_buffer_load_b128 v[8:11], v7, s[sgprSrdC:sgprSrdC+3], 0, offen offset:0,  nt // load C for beta calc
/* (d1,vc1,d0,vc0)=(5,0,1,0) */
_buffer_load_b128 v[16:19], v7, s[sgprSrdC:sgprSrdC+3], 0, offen offset:1024,  nt // load C for beta calc
/* (d1,vc1,d0,vc0)=(5,1,0,0) */
s_lshl_b32  s56, s[sgprStrideC1J], 3               // incToNextRow: Scale by BPE
s_add_u32  s[sgprSrdC+0], s[sgprSrdC+0], s56       // incToNextRow: gra SRD += inc(lower)
s_addc_u32  s[sgprSrdC+1], s[sgprSrdC+1], 0        // incToNextRow: gra SRD += inc(upper)
_buffer_load_b128 v[24:27], v7, s[sgprSrdC:sgprSrdC+3], 0, offen offset:0,  nt // load C for beta calc
/* (d1,vc1,d0,vc0)=(5,1,1,0) */
_buffer_load_b128 v[32:35], v7, s[sgprSrdC:sgprSrdC+3], 0, offen offset:1024,  nt // load C for beta calc
s_sleep 3 // optimization: sync and wait
s_barrier
v_accvgpr_read_b32 v[vgprValuC+12], acc80 // copy acc to vreg[160]
v_accvgpr_read_b32 v[vgprValuC+13], acc192 // copy acc to vreg[161]
v_accvgpr_read_b32 v[vgprValuC+14], acc84 // copy acc to vreg[162]
v_accvgpr_read_b32 v[vgprValuC+15], acc196 // copy acc to vreg[163]
v_accvgpr_read_b32 v[vgprValuC+20], acc88 // copy acc to vreg[164]
v_accvgpr_read_b32 v[vgprValuC+21], acc200 // copy acc to vreg[165]
v_accvgpr_read_b32 v[vgprValuC+22], acc92 // copy acc to vreg[166]
v_accvgpr_read_b32 v[vgprValuC+23], acc204 // copy acc to vreg[167]
v_accvgpr_read_b32 v[vgprValuC+28], acc81 // copy acc to vreg[168]
v_accvgpr_read_b32 v[vgprValuC+29], acc193 // copy acc to vreg[169]
v_accvgpr_read_b32 v[vgprValuC+30], acc85 // copy acc to vreg[170]
v_accvgpr_read_b32 v[vgprValuC+31], acc197 // copy acc to vreg[171]
v_accvgpr_read_b32 v[vgprValuC+36], acc89 // copy acc to vreg[172]
v_accvgpr_read_b32 v[vgprValuC+37], acc201 // copy acc to vreg[173]
v_accvgpr_read_b32 v[vgprValuC+38], acc93 // copy acc to vreg[174]
v_accvgpr_read_b32 v[vgprValuC+39], acc205 // copy acc to vreg[175]
s_nop 1                                            // 2 wait states required before reading vgpr

/* rC *= alpha batchElements=[(5, 0, 0, 0), (5, 1, 0, 0), (5, 0, 1, 0), (5, 1, 1, 0)] */
v_mov_b32 v40, v[vgprValuC+12]                     // store Cr
v_mul_f32 v[vgprValuC+12], s[sgprAlpha], v[vgprValuC+12] // *= alpha ( Cr = Ar * Cr)
_v_mac_f32 v[vgprValuC+12], -s[sgprAlpha+1], v[vgprValuC+13] // *= alpha ( Cr += -Ai * Ci )
v_mul_f32 v[vgprValuC+13], s[sgprAlpha], v[vgprValuC+13] // *= alpha ( Ci = Ar * Ci)
_v_mac_f32 v[vgprValuC+13], s[sgprAlpha+1], v40    // *= alpha ( Ci += Ai * Cr_backup )
v_mov_b32 v40, v[vgprValuC+14]                     // store Cr
v_mul_f32 v[vgprValuC+14], s[sgprAlpha], v[vgprValuC+14] // *= alpha ( Cr = Ar * Cr)
_v_mac_f32 v[vgprValuC+14], -s[sgprAlpha+1], v[vgprValuC+15] // *= alpha ( Cr += -Ai * Ci )
v_mul_f32 v[vgprValuC+15], s[sgprAlpha], v[vgprValuC+15] // *= alpha ( Ci = Ar * Ci)
_v_mac_f32 v[vgprValuC+15], s[sgprAlpha+1], v40    // *= alpha ( Ci += Ai * Cr_backup )
	;; [unrolled: 5-line block ×8, first 2 shown]

/* apply mask, calc new C and issue writes */

s_waitcnt vmcnt(3)                                 // wait C (interleaved) 3 = 4 - 0 + 0 - 1
_v_mac_f32 v[vgprValuC+12], v8, s[sgprBeta]        // finalSum Cr += old Cr * Br
_v_mac_f32 v[vgprValuC+12], v9, -s[sgprBeta+1]     // finalSum Cr += old Ci * -Bi
_v_mac_f32 v[vgprValuC+13], v9, s[sgprBeta]        // finalSum Ci += old Ci * Br
_v_mac_f32 v[vgprValuC+13], v8, s[sgprBeta+1]      // finalSum Ci += old Cr * Bi
_v_mac_f32 v[vgprValuC+14], v10, s[sgprBeta]       // finalSum Cr += old Cr * Br
_v_mac_f32 v[vgprValuC+14], v11, -s[sgprBeta+1]    // finalSum Cr += old Ci * -Bi
_v_mac_f32 v[vgprValuC+15], v11, s[sgprBeta]       // finalSum Ci += old Ci * Br
_v_mac_f32 v[vgprValuC+15], v10, s[sgprBeta+1]     // finalSum Ci += old Cr * Bi
s_mul_i32 s56, s[sgprStrideD1J], 104               // scale StrideD *= numRows(13) * bpe
s_add_u32  s[sgprSrdD+0], s[sgprSrdD+0], s56       // incToNextRow: gra SRD += inc(lower)
s_addc_u32  s[sgprSrdD+1], s[sgprSrdD+1], 0        // incToNextRow: gra SRD += inc(upper)
_buffer_store_b128 v[12:15], v6, s[sgprSrdD:sgprSrdD+3], 0, offen, offset:0,  nt // store D

s_waitcnt vmcnt(3)                                 // wait C (interleaved) 3 = 4 - 1 + 1 - 1
_v_mac_f32 v[vgprValuC+20], v16, s[sgprBeta]       // finalSum Cr += old Cr * Br
_v_mac_f32 v[vgprValuC+20], v17, -s[sgprBeta+1]    // finalSum Cr += old Ci * -Bi
_v_mac_f32 v[vgprValuC+21], v17, s[sgprBeta]       // finalSum Ci += old Ci * Br
_v_mac_f32 v[vgprValuC+21], v16, s[sgprBeta+1]     // finalSum Ci += old Cr * Bi
_v_mac_f32 v[vgprValuC+22], v18, s[sgprBeta]       // finalSum Cr += old Cr * Br
_v_mac_f32 v[vgprValuC+22], v19, -s[sgprBeta+1]    // finalSum Cr += old Ci * -Bi
_v_mac_f32 v[vgprValuC+23], v19, s[sgprBeta]       // finalSum Ci += old Ci * Br
_v_mac_f32 v[vgprValuC+23], v18, s[sgprBeta+1]     // finalSum Ci += old Cr * Bi
_buffer_store_b128 v[20:23], v6, s[sgprSrdD:sgprSrdD+3], 0, offen, offset:1024,  nt // store D

s_waitcnt vmcnt(3)                                 // wait C (interleaved) 3 = 4 - 2 + 2 - 1
_v_mac_f32 v[vgprValuC+28], v24, s[sgprBeta]       // finalSum Cr += old Cr * Br
_v_mac_f32 v[vgprValuC+28], v25, -s[sgprBeta+1]    // finalSum Cr += old Ci * -Bi
_v_mac_f32 v[vgprValuC+29], v25, s[sgprBeta]       // finalSum Ci += old Ci * Br
_v_mac_f32 v[vgprValuC+29], v24, s[sgprBeta+1]     // finalSum Ci += old Cr * Bi
_v_mac_f32 v[vgprValuC+30], v26, s[sgprBeta]       // finalSum Cr += old Cr * Br
_v_mac_f32 v[vgprValuC+30], v27, -s[sgprBeta+1]    // finalSum Cr += old Ci * -Bi
_v_mac_f32 v[vgprValuC+31], v27, s[sgprBeta]       // finalSum Ci += old Ci * Br
_v_mac_f32 v[vgprValuC+31], v26, s[sgprBeta+1]     // finalSum Ci += old Cr * Bi
s_lshl_b32  s56, s[sgprStrideD1J], 3               // incToNextRow: Scale by BPE
s_add_u32  s[sgprSrdD+0], s[sgprSrdD+0], s56       // incToNextRow: gra SRD += inc(lower)
s_addc_u32  s[sgprSrdD+1], s[sgprSrdD+1], 0        // incToNextRow: gra SRD += inc(upper)
_buffer_store_b128 v[28:31], v6, s[sgprSrdD:sgprSrdD+3], 0, offen, offset:0,  nt // store D

s_waitcnt vmcnt(3)                                 // wait C (interleaved) 3 = 4 - 3 + 3 - 1
_v_mac_f32 v[vgprValuC+36], v32, s[sgprBeta]       // finalSum Cr += old Cr * Br
_v_mac_f32 v[vgprValuC+36], v33, -s[sgprBeta+1]    // finalSum Cr += old Ci * -Bi
_v_mac_f32 v[vgprValuC+37], v33, s[sgprBeta]       // finalSum Ci += old Ci * Br
_v_mac_f32 v[vgprValuC+37], v32, s[sgprBeta+1]     // finalSum Ci += old Cr * Bi
_v_mac_f32 v[vgprValuC+38], v34, s[sgprBeta]       // finalSum Cr += old Cr * Br
_v_mac_f32 v[vgprValuC+38], v35, -s[sgprBeta+1]    // finalSum Cr += old Ci * -Bi
_v_mac_f32 v[vgprValuC+39], v35, s[sgprBeta]       // finalSum Ci += old Ci * Br
_v_mac_f32 v[vgprValuC+39], v34, s[sgprBeta+1]     // finalSum Ci += old Cr * Bi
_buffer_store_b128 v[36:39], v6, s[sgprSrdD:sgprSrdD+3], 0, offen, offset:1024,  nt // store D
s_nop 0                                            // 1 wait state required when next inst writes vgprs held by previous dwordx4 store inst
/* optSingleColVgpr=1 optSharedColVgpr=0 optSGPRUsage=BufferLoad_Mask optSrdIncForRow=1 */
s_sleep 3 // optimization: sync and wait
s_barrier

/******************************************/
/* Global Write Alpha Beta Batch #11 (d1,d0,vc1,vc0) = */
/*    (5,0,2,0:vw2); (5,1,2,0:vw2); (5,0,3,0:vw2); (5,1,3,0:vw2) */
/******************************************/

/* calc coords, apply mask, and issue loads (if necessary) */
/* (d1,vc1,d0,vc0)=(5,2,0,0) */
s_lshl_b32  s56, s[sgprStrideC1J], 3               // incToNextRow: Scale by BPE
s_add_u32  s[sgprSrdC+0], s[sgprSrdC+0], s56       // incToNextRow: gra SRD += inc(lower)
s_addc_u32  s[sgprSrdC+1], s[sgprSrdC+1], 0        // incToNextRow: gra SRD += inc(upper)
_buffer_load_b128 v[8:11], v7, s[sgprSrdC:sgprSrdC+3], 0, offen offset:0,  nt // load C for beta calc
/* (d1,vc1,d0,vc0)=(5,2,1,0) */
_buffer_load_b128 v[16:19], v7, s[sgprSrdC:sgprSrdC+3], 0, offen offset:1024,  nt // load C for beta calc
/* (d1,vc1,d0,vc0)=(5,3,0,0) */
s_lshl_b32  s56, s[sgprStrideC1J], 3               // incToNextRow: Scale by BPE
s_add_u32  s[sgprSrdC+0], s[sgprSrdC+0], s56       // incToNextRow: gra SRD += inc(lower)
s_addc_u32  s[sgprSrdC+1], s[sgprSrdC+1], 0        // incToNextRow: gra SRD += inc(upper)
_buffer_load_b128 v[24:27], v7, s[sgprSrdC:sgprSrdC+3], 0, offen offset:0,  nt // load C for beta calc
/* (d1,vc1,d0,vc0)=(5,3,1,0) */
_buffer_load_b128 v[32:35], v7, s[sgprSrdC:sgprSrdC+3], 0, offen offset:1024,  nt // load C for beta calc
s_sleep 3 // optimization: sync and wait
s_barrier
v_accvgpr_read_b32 v[vgprValuC+12], acc82 // copy acc to vreg[176]
v_accvgpr_read_b32 v[vgprValuC+13], acc194 // copy acc to vreg[177]
v_accvgpr_read_b32 v[vgprValuC+14], acc86 // copy acc to vreg[178]
v_accvgpr_read_b32 v[vgprValuC+15], acc198 // copy acc to vreg[179]
v_accvgpr_read_b32 v[vgprValuC+20], acc90 // copy acc to vreg[180]
v_accvgpr_read_b32 v[vgprValuC+21], acc202 // copy acc to vreg[181]
v_accvgpr_read_b32 v[vgprValuC+22], acc94 // copy acc to vreg[182]
v_accvgpr_read_b32 v[vgprValuC+23], acc206 // copy acc to vreg[183]
v_accvgpr_read_b32 v[vgprValuC+28], acc83 // copy acc to vreg[184]
v_accvgpr_read_b32 v[vgprValuC+29], acc195 // copy acc to vreg[185]
v_accvgpr_read_b32 v[vgprValuC+30], acc87 // copy acc to vreg[186]
v_accvgpr_read_b32 v[vgprValuC+31], acc199 // copy acc to vreg[187]
v_accvgpr_read_b32 v[vgprValuC+36], acc91 // copy acc to vreg[188]
v_accvgpr_read_b32 v[vgprValuC+37], acc203 // copy acc to vreg[189]
v_accvgpr_read_b32 v[vgprValuC+38], acc95 // copy acc to vreg[190]
v_accvgpr_read_b32 v[vgprValuC+39], acc207 // copy acc to vreg[191]
s_nop 1                                            // 2 wait states required before reading vgpr

/* rC *= alpha batchElements=[(5, 0, 2, 0), (5, 1, 2, 0), (5, 0, 3, 0), (5, 1, 3, 0)] */
v_mov_b32 v40, v[vgprValuC+12]                     // store Cr
v_mul_f32 v[vgprValuC+12], s[sgprAlpha], v[vgprValuC+12] // *= alpha ( Cr = Ar * Cr)
_v_mac_f32 v[vgprValuC+12], -s[sgprAlpha+1], v[vgprValuC+13] // *= alpha ( Cr += -Ai * Ci )
v_mul_f32 v[vgprValuC+13], s[sgprAlpha], v[vgprValuC+13] // *= alpha ( Ci = Ar * Ci)
_v_mac_f32 v[vgprValuC+13], s[sgprAlpha+1], v40    // *= alpha ( Ci += Ai * Cr_backup )
v_mov_b32 v40, v[vgprValuC+14]                     // store Cr
v_mul_f32 v[vgprValuC+14], s[sgprAlpha], v[vgprValuC+14] // *= alpha ( Cr = Ar * Cr)
_v_mac_f32 v[vgprValuC+14], -s[sgprAlpha+1], v[vgprValuC+15] // *= alpha ( Cr += -Ai * Ci )
v_mul_f32 v[vgprValuC+15], s[sgprAlpha], v[vgprValuC+15] // *= alpha ( Ci = Ar * Ci)
_v_mac_f32 v[vgprValuC+15], s[sgprAlpha+1], v40    // *= alpha ( Ci += Ai * Cr_backup )
	;; [unrolled: 5-line block ×8, first 2 shown]

/* apply mask, calc new C and issue writes */

s_waitcnt vmcnt(3)                                 // wait C (interleaved) 3 = 4 - 0 + 0 - 1
_v_mac_f32 v[vgprValuC+12], v8, s[sgprBeta]        // finalSum Cr += old Cr * Br
_v_mac_f32 v[vgprValuC+12], v9, -s[sgprBeta+1]     // finalSum Cr += old Ci * -Bi
_v_mac_f32 v[vgprValuC+13], v9, s[sgprBeta]        // finalSum Ci += old Ci * Br
_v_mac_f32 v[vgprValuC+13], v8, s[sgprBeta+1]      // finalSum Ci += old Cr * Bi
_v_mac_f32 v[vgprValuC+14], v10, s[sgprBeta]       // finalSum Cr += old Cr * Br
_v_mac_f32 v[vgprValuC+14], v11, -s[sgprBeta+1]    // finalSum Cr += old Ci * -Bi
_v_mac_f32 v[vgprValuC+15], v11, s[sgprBeta]       // finalSum Ci += old Ci * Br
_v_mac_f32 v[vgprValuC+15], v10, s[sgprBeta+1]     // finalSum Ci += old Cr * Bi
s_lshl_b32  s56, s[sgprStrideD1J], 3               // incToNextRow: Scale by BPE
s_add_u32  s[sgprSrdD+0], s[sgprSrdD+0], s56       // incToNextRow: gra SRD += inc(lower)
s_addc_u32  s[sgprSrdD+1], s[sgprSrdD+1], 0        // incToNextRow: gra SRD += inc(upper)
_buffer_store_b128 v[12:15], v6, s[sgprSrdD:sgprSrdD+3], 0, offen, offset:0,  nt // store D

s_waitcnt vmcnt(3)                                 // wait C (interleaved) 3 = 4 - 1 + 1 - 1
_v_mac_f32 v[vgprValuC+20], v16, s[sgprBeta]       // finalSum Cr += old Cr * Br
_v_mac_f32 v[vgprValuC+20], v17, -s[sgprBeta+1]    // finalSum Cr += old Ci * -Bi
_v_mac_f32 v[vgprValuC+21], v17, s[sgprBeta]       // finalSum Ci += old Ci * Br
_v_mac_f32 v[vgprValuC+21], v16, s[sgprBeta+1]     // finalSum Ci += old Cr * Bi
_v_mac_f32 v[vgprValuC+22], v18, s[sgprBeta]       // finalSum Cr += old Cr * Br
_v_mac_f32 v[vgprValuC+22], v19, -s[sgprBeta+1]    // finalSum Cr += old Ci * -Bi
_v_mac_f32 v[vgprValuC+23], v19, s[sgprBeta]       // finalSum Ci += old Ci * Br
_v_mac_f32 v[vgprValuC+23], v18, s[sgprBeta+1]     // finalSum Ci += old Cr * Bi
_buffer_store_b128 v[20:23], v6, s[sgprSrdD:sgprSrdD+3], 0, offen, offset:1024,  nt // store D

s_waitcnt vmcnt(3)                                 // wait C (interleaved) 3 = 4 - 2 + 2 - 1
_v_mac_f32 v[vgprValuC+28], v24, s[sgprBeta]       // finalSum Cr += old Cr * Br
_v_mac_f32 v[vgprValuC+28], v25, -s[sgprBeta+1]    // finalSum Cr += old Ci * -Bi
_v_mac_f32 v[vgprValuC+29], v25, s[sgprBeta]       // finalSum Ci += old Ci * Br
_v_mac_f32 v[vgprValuC+29], v24, s[sgprBeta+1]     // finalSum Ci += old Cr * Bi
_v_mac_f32 v[vgprValuC+30], v26, s[sgprBeta]       // finalSum Cr += old Cr * Br
_v_mac_f32 v[vgprValuC+30], v27, -s[sgprBeta+1]    // finalSum Cr += old Ci * -Bi
_v_mac_f32 v[vgprValuC+31], v27, s[sgprBeta]       // finalSum Ci += old Ci * Br
_v_mac_f32 v[vgprValuC+31], v26, s[sgprBeta+1]     // finalSum Ci += old Cr * Bi
s_lshl_b32  s56, s[sgprStrideD1J], 3               // incToNextRow: Scale by BPE
s_add_u32  s[sgprSrdD+0], s[sgprSrdD+0], s56       // incToNextRow: gra SRD += inc(lower)
s_addc_u32  s[sgprSrdD+1], s[sgprSrdD+1], 0        // incToNextRow: gra SRD += inc(upper)
_buffer_store_b128 v[28:31], v6, s[sgprSrdD:sgprSrdD+3], 0, offen, offset:0,  nt // store D

s_waitcnt vmcnt(3)                                 // wait C (interleaved) 3 = 4 - 3 + 3 - 1
_v_mac_f32 v[vgprValuC+36], v32, s[sgprBeta]       // finalSum Cr += old Cr * Br
_v_mac_f32 v[vgprValuC+36], v33, -s[sgprBeta+1]    // finalSum Cr += old Ci * -Bi
_v_mac_f32 v[vgprValuC+37], v33, s[sgprBeta]       // finalSum Ci += old Ci * Br
_v_mac_f32 v[vgprValuC+37], v32, s[sgprBeta+1]     // finalSum Ci += old Cr * Bi
_v_mac_f32 v[vgprValuC+38], v34, s[sgprBeta]       // finalSum Cr += old Cr * Br
_v_mac_f32 v[vgprValuC+38], v35, -s[sgprBeta+1]    // finalSum Cr += old Ci * -Bi
_v_mac_f32 v[vgprValuC+39], v35, s[sgprBeta]       // finalSum Ci += old Ci * Br
_v_mac_f32 v[vgprValuC+39], v34, s[sgprBeta+1]     // finalSum Ci += old Cr * Bi
_buffer_store_b128 v[36:39], v6, s[sgprSrdD:sgprSrdD+3], 0, offen, offset:1024,  nt // store D
s_nop 0                                            // 1 wait state required when next inst writes vgprs held by previous dwordx4 store inst
/* optSingleColVgpr=1 optSharedColVgpr=0 optSGPRUsage=BufferLoad_Mask optSrdIncForRow=1 */
s_sleep 3 // optimization: sync and wait
s_barrier

/******************************************/
/* Global Write Alpha Beta Batch #12 (d1,d0,vc1,vc0) = */
/*    (6,0,0,0:vw2); (6,1,0,0:vw2); (6,0,1,0:vw2); (6,1,1,0:vw2) */
/******************************************/

/* calc coords, apply mask, and issue loads (if necessary) */
/* (d1,vc1,d0,vc0)=(6,0,0,0) */
s_mul_i32 s56, s[sgprStrideC1J], 104               // scale StrideC *= numRows(13) * bpe
s_add_u32  s[sgprSrdC+0], s[sgprSrdC+0], s56       // incToNextRow: gra SRD += inc(lower)
s_addc_u32  s[sgprSrdC+1], s[sgprSrdC+1], 0        // incToNextRow: gra SRD += inc(upper)
_buffer_load_b128 v[8:11], v7, s[sgprSrdC:sgprSrdC+3], 0, offen offset:0,  nt // load C for beta calc
/* (d1,vc1,d0,vc0)=(6,0,1,0) */
_buffer_load_b128 v[16:19], v7, s[sgprSrdC:sgprSrdC+3], 0, offen offset:1024,  nt // load C for beta calc
/* (d1,vc1,d0,vc0)=(6,1,0,0) */
s_lshl_b32  s56, s[sgprStrideC1J], 3               // incToNextRow: Scale by BPE
s_add_u32  s[sgprSrdC+0], s[sgprSrdC+0], s56       // incToNextRow: gra SRD += inc(lower)
s_addc_u32  s[sgprSrdC+1], s[sgprSrdC+1], 0        // incToNextRow: gra SRD += inc(upper)
_buffer_load_b128 v[24:27], v7, s[sgprSrdC:sgprSrdC+3], 0, offen offset:0,  nt // load C for beta calc
/* (d1,vc1,d0,vc0)=(6,1,1,0) */
_buffer_load_b128 v[32:35], v7, s[sgprSrdC:sgprSrdC+3], 0, offen offset:1024,  nt // load C for beta calc
s_sleep 3 // optimization: sync and wait
s_barrier
v_accvgpr_read_b32 v[vgprValuC+12], acc96 // copy acc to vreg[192]
v_accvgpr_read_b32 v[vgprValuC+13], acc208 // copy acc to vreg[193]
v_accvgpr_read_b32 v[vgprValuC+14], acc100 // copy acc to vreg[194]
v_accvgpr_read_b32 v[vgprValuC+15], acc212 // copy acc to vreg[195]
v_accvgpr_read_b32 v[vgprValuC+20], acc104 // copy acc to vreg[196]
v_accvgpr_read_b32 v[vgprValuC+21], acc216 // copy acc to vreg[197]
v_accvgpr_read_b32 v[vgprValuC+22], acc108 // copy acc to vreg[198]
v_accvgpr_read_b32 v[vgprValuC+23], acc220 // copy acc to vreg[199]
v_accvgpr_read_b32 v[vgprValuC+28], acc97 // copy acc to vreg[200]
v_accvgpr_read_b32 v[vgprValuC+29], acc209 // copy acc to vreg[201]
v_accvgpr_read_b32 v[vgprValuC+30], acc101 // copy acc to vreg[202]
v_accvgpr_read_b32 v[vgprValuC+31], acc213 // copy acc to vreg[203]
v_accvgpr_read_b32 v[vgprValuC+36], acc105 // copy acc to vreg[204]
v_accvgpr_read_b32 v[vgprValuC+37], acc217 // copy acc to vreg[205]
v_accvgpr_read_b32 v[vgprValuC+38], acc109 // copy acc to vreg[206]
v_accvgpr_read_b32 v[vgprValuC+39], acc221 // copy acc to vreg[207]
s_nop 1                                            // 2 wait states required before reading vgpr

/* rC *= alpha batchElements=[(6, 0, 0, 0), (6, 1, 0, 0), (6, 0, 1, 0), (6, 1, 1, 0)] */
v_mov_b32 v40, v[vgprValuC+12]                     // store Cr
v_mul_f32 v[vgprValuC+12], s[sgprAlpha], v[vgprValuC+12] // *= alpha ( Cr = Ar * Cr)
_v_mac_f32 v[vgprValuC+12], -s[sgprAlpha+1], v[vgprValuC+13] // *= alpha ( Cr += -Ai * Ci )
v_mul_f32 v[vgprValuC+13], s[sgprAlpha], v[vgprValuC+13] // *= alpha ( Ci = Ar * Ci)
_v_mac_f32 v[vgprValuC+13], s[sgprAlpha+1], v40    // *= alpha ( Ci += Ai * Cr_backup )
v_mov_b32 v40, v[vgprValuC+14]                     // store Cr
v_mul_f32 v[vgprValuC+14], s[sgprAlpha], v[vgprValuC+14] // *= alpha ( Cr = Ar * Cr)
_v_mac_f32 v[vgprValuC+14], -s[sgprAlpha+1], v[vgprValuC+15] // *= alpha ( Cr += -Ai * Ci )
v_mul_f32 v[vgprValuC+15], s[sgprAlpha], v[vgprValuC+15] // *= alpha ( Ci = Ar * Ci)
_v_mac_f32 v[vgprValuC+15], s[sgprAlpha+1], v40    // *= alpha ( Ci += Ai * Cr_backup )
	;; [unrolled: 5-line block ×8, first 2 shown]

/* apply mask, calc new C and issue writes */

s_waitcnt vmcnt(3)                                 // wait C (interleaved) 3 = 4 - 0 + 0 - 1
_v_mac_f32 v[vgprValuC+12], v8, s[sgprBeta]        // finalSum Cr += old Cr * Br
_v_mac_f32 v[vgprValuC+12], v9, -s[sgprBeta+1]     // finalSum Cr += old Ci * -Bi
_v_mac_f32 v[vgprValuC+13], v9, s[sgprBeta]        // finalSum Ci += old Ci * Br
_v_mac_f32 v[vgprValuC+13], v8, s[sgprBeta+1]      // finalSum Ci += old Cr * Bi
_v_mac_f32 v[vgprValuC+14], v10, s[sgprBeta]       // finalSum Cr += old Cr * Br
_v_mac_f32 v[vgprValuC+14], v11, -s[sgprBeta+1]    // finalSum Cr += old Ci * -Bi
_v_mac_f32 v[vgprValuC+15], v11, s[sgprBeta]       // finalSum Ci += old Ci * Br
_v_mac_f32 v[vgprValuC+15], v10, s[sgprBeta+1]     // finalSum Ci += old Cr * Bi
s_mul_i32 s56, s[sgprStrideD1J], 104               // scale StrideD *= numRows(13) * bpe
s_add_u32  s[sgprSrdD+0], s[sgprSrdD+0], s56       // incToNextRow: gra SRD += inc(lower)
s_addc_u32  s[sgprSrdD+1], s[sgprSrdD+1], 0        // incToNextRow: gra SRD += inc(upper)
_buffer_store_b128 v[12:15], v6, s[sgprSrdD:sgprSrdD+3], 0, offen, offset:0,  nt // store D

s_waitcnt vmcnt(3)                                 // wait C (interleaved) 3 = 4 - 1 + 1 - 1
_v_mac_f32 v[vgprValuC+20], v16, s[sgprBeta]       // finalSum Cr += old Cr * Br
_v_mac_f32 v[vgprValuC+20], v17, -s[sgprBeta+1]    // finalSum Cr += old Ci * -Bi
_v_mac_f32 v[vgprValuC+21], v17, s[sgprBeta]       // finalSum Ci += old Ci * Br
_v_mac_f32 v[vgprValuC+21], v16, s[sgprBeta+1]     // finalSum Ci += old Cr * Bi
_v_mac_f32 v[vgprValuC+22], v18, s[sgprBeta]       // finalSum Cr += old Cr * Br
_v_mac_f32 v[vgprValuC+22], v19, -s[sgprBeta+1]    // finalSum Cr += old Ci * -Bi
_v_mac_f32 v[vgprValuC+23], v19, s[sgprBeta]       // finalSum Ci += old Ci * Br
_v_mac_f32 v[vgprValuC+23], v18, s[sgprBeta+1]     // finalSum Ci += old Cr * Bi
_buffer_store_b128 v[20:23], v6, s[sgprSrdD:sgprSrdD+3], 0, offen, offset:1024,  nt // store D

s_waitcnt vmcnt(3)                                 // wait C (interleaved) 3 = 4 - 2 + 2 - 1
_v_mac_f32 v[vgprValuC+28], v24, s[sgprBeta]       // finalSum Cr += old Cr * Br
_v_mac_f32 v[vgprValuC+28], v25, -s[sgprBeta+1]    // finalSum Cr += old Ci * -Bi
_v_mac_f32 v[vgprValuC+29], v25, s[sgprBeta]       // finalSum Ci += old Ci * Br
_v_mac_f32 v[vgprValuC+29], v24, s[sgprBeta+1]     // finalSum Ci += old Cr * Bi
_v_mac_f32 v[vgprValuC+30], v26, s[sgprBeta]       // finalSum Cr += old Cr * Br
_v_mac_f32 v[vgprValuC+30], v27, -s[sgprBeta+1]    // finalSum Cr += old Ci * -Bi
_v_mac_f32 v[vgprValuC+31], v27, s[sgprBeta]       // finalSum Ci += old Ci * Br
_v_mac_f32 v[vgprValuC+31], v26, s[sgprBeta+1]     // finalSum Ci += old Cr * Bi
s_lshl_b32  s56, s[sgprStrideD1J], 3               // incToNextRow: Scale by BPE
s_add_u32  s[sgprSrdD+0], s[sgprSrdD+0], s56       // incToNextRow: gra SRD += inc(lower)
s_addc_u32  s[sgprSrdD+1], s[sgprSrdD+1], 0        // incToNextRow: gra SRD += inc(upper)
_buffer_store_b128 v[28:31], v6, s[sgprSrdD:sgprSrdD+3], 0, offen, offset:0,  nt // store D

s_waitcnt vmcnt(3)                                 // wait C (interleaved) 3 = 4 - 3 + 3 - 1
_v_mac_f32 v[vgprValuC+36], v32, s[sgprBeta]       // finalSum Cr += old Cr * Br
_v_mac_f32 v[vgprValuC+36], v33, -s[sgprBeta+1]    // finalSum Cr += old Ci * -Bi
_v_mac_f32 v[vgprValuC+37], v33, s[sgprBeta]       // finalSum Ci += old Ci * Br
_v_mac_f32 v[vgprValuC+37], v32, s[sgprBeta+1]     // finalSum Ci += old Cr * Bi
_v_mac_f32 v[vgprValuC+38], v34, s[sgprBeta]       // finalSum Cr += old Cr * Br
_v_mac_f32 v[vgprValuC+38], v35, -s[sgprBeta+1]    // finalSum Cr += old Ci * -Bi
_v_mac_f32 v[vgprValuC+39], v35, s[sgprBeta]       // finalSum Ci += old Ci * Br
_v_mac_f32 v[vgprValuC+39], v34, s[sgprBeta+1]     // finalSum Ci += old Cr * Bi
_buffer_store_b128 v[36:39], v6, s[sgprSrdD:sgprSrdD+3], 0, offen, offset:1024,  nt // store D
s_nop 0                                            // 1 wait state required when next inst writes vgprs held by previous dwordx4 store inst
/* optSingleColVgpr=1 optSharedColVgpr=0 optSGPRUsage=BufferLoad_Mask optSrdIncForRow=1 */
s_sleep 3 // optimization: sync and wait
s_barrier

/******************************************/
/* Global Write Alpha Beta Batch #13 (d1,d0,vc1,vc0) = */
/*    (6,0,2,0:vw2); (6,1,2,0:vw2); (6,0,3,0:vw2); (6,1,3,0:vw2) */
/******************************************/

/* calc coords, apply mask, and issue loads (if necessary) */
/* (d1,vc1,d0,vc0)=(6,2,0,0) */
s_lshl_b32  s56, s[sgprStrideC1J], 3               // incToNextRow: Scale by BPE
s_add_u32  s[sgprSrdC+0], s[sgprSrdC+0], s56       // incToNextRow: gra SRD += inc(lower)
s_addc_u32  s[sgprSrdC+1], s[sgprSrdC+1], 0        // incToNextRow: gra SRD += inc(upper)
_buffer_load_b128 v[8:11], v7, s[sgprSrdC:sgprSrdC+3], 0, offen offset:0,  nt // load C for beta calc
/* (d1,vc1,d0,vc0)=(6,2,1,0) */
_buffer_load_b128 v[16:19], v7, s[sgprSrdC:sgprSrdC+3], 0, offen offset:1024,  nt // load C for beta calc
/* (d1,vc1,d0,vc0)=(6,3,0,0) */
s_lshl_b32  s56, s[sgprStrideC1J], 3               // incToNextRow: Scale by BPE
s_add_u32  s[sgprSrdC+0], s[sgprSrdC+0], s56       // incToNextRow: gra SRD += inc(lower)
s_addc_u32  s[sgprSrdC+1], s[sgprSrdC+1], 0        // incToNextRow: gra SRD += inc(upper)
_buffer_load_b128 v[24:27], v7, s[sgprSrdC:sgprSrdC+3], 0, offen offset:0,  nt // load C for beta calc
/* (d1,vc1,d0,vc0)=(6,3,1,0) */
_buffer_load_b128 v[32:35], v7, s[sgprSrdC:sgprSrdC+3], 0, offen offset:1024,  nt // load C for beta calc
s_sleep 3 // optimization: sync and wait
s_barrier
v_accvgpr_read_b32 v[vgprValuC+12], acc98 // copy acc to vreg[208]
v_accvgpr_read_b32 v[vgprValuC+13], acc210 // copy acc to vreg[209]
v_accvgpr_read_b32 v[vgprValuC+14], acc102 // copy acc to vreg[210]
v_accvgpr_read_b32 v[vgprValuC+15], acc214 // copy acc to vreg[211]
v_accvgpr_read_b32 v[vgprValuC+20], acc106 // copy acc to vreg[212]
v_accvgpr_read_b32 v[vgprValuC+21], acc218 // copy acc to vreg[213]
v_accvgpr_read_b32 v[vgprValuC+22], acc110 // copy acc to vreg[214]
v_accvgpr_read_b32 v[vgprValuC+23], acc222 // copy acc to vreg[215]
v_accvgpr_read_b32 v[vgprValuC+28], acc99 // copy acc to vreg[216]
v_accvgpr_read_b32 v[vgprValuC+29], acc211 // copy acc to vreg[217]
v_accvgpr_read_b32 v[vgprValuC+30], acc103 // copy acc to vreg[218]
v_accvgpr_read_b32 v[vgprValuC+31], acc215 // copy acc to vreg[219]
v_accvgpr_read_b32 v[vgprValuC+36], acc107 // copy acc to vreg[220]
v_accvgpr_read_b32 v[vgprValuC+37], acc219 // copy acc to vreg[221]
v_accvgpr_read_b32 v[vgprValuC+38], acc111 // copy acc to vreg[222]
v_accvgpr_read_b32 v[vgprValuC+39], acc223 // copy acc to vreg[223]
s_nop 1                                            // 2 wait states required before reading vgpr

/* rC *= alpha batchElements=[(6, 0, 2, 0), (6, 1, 2, 0), (6, 0, 3, 0), (6, 1, 3, 0)] */
v_mov_b32 v40, v[vgprValuC+12]                     // store Cr
v_mul_f32 v[vgprValuC+12], s[sgprAlpha], v[vgprValuC+12] // *= alpha ( Cr = Ar * Cr)
_v_mac_f32 v[vgprValuC+12], -s[sgprAlpha+1], v[vgprValuC+13] // *= alpha ( Cr += -Ai * Ci )
v_mul_f32 v[vgprValuC+13], s[sgprAlpha], v[vgprValuC+13] // *= alpha ( Ci = Ar * Ci)
_v_mac_f32 v[vgprValuC+13], s[sgprAlpha+1], v40    // *= alpha ( Ci += Ai * Cr_backup )
v_mov_b32 v40, v[vgprValuC+14]                     // store Cr
v_mul_f32 v[vgprValuC+14], s[sgprAlpha], v[vgprValuC+14] // *= alpha ( Cr = Ar * Cr)
_v_mac_f32 v[vgprValuC+14], -s[sgprAlpha+1], v[vgprValuC+15] // *= alpha ( Cr += -Ai * Ci )
v_mul_f32 v[vgprValuC+15], s[sgprAlpha], v[vgprValuC+15] // *= alpha ( Ci = Ar * Ci)
_v_mac_f32 v[vgprValuC+15], s[sgprAlpha+1], v40    // *= alpha ( Ci += Ai * Cr_backup )
	;; [unrolled: 5-line block ×8, first 2 shown]

/* apply mask, calc new C and issue writes */

s_waitcnt vmcnt(3)                                 // wait C (interleaved) 3 = 4 - 0 + 0 - 1
_v_mac_f32 v[vgprValuC+12], v8, s[sgprBeta]        // finalSum Cr += old Cr * Br
_v_mac_f32 v[vgprValuC+12], v9, -s[sgprBeta+1]     // finalSum Cr += old Ci * -Bi
_v_mac_f32 v[vgprValuC+13], v9, s[sgprBeta]        // finalSum Ci += old Ci * Br
_v_mac_f32 v[vgprValuC+13], v8, s[sgprBeta+1]      // finalSum Ci += old Cr * Bi
_v_mac_f32 v[vgprValuC+14], v10, s[sgprBeta]       // finalSum Cr += old Cr * Br
_v_mac_f32 v[vgprValuC+14], v11, -s[sgprBeta+1]    // finalSum Cr += old Ci * -Bi
_v_mac_f32 v[vgprValuC+15], v11, s[sgprBeta]       // finalSum Ci += old Ci * Br
_v_mac_f32 v[vgprValuC+15], v10, s[sgprBeta+1]     // finalSum Ci += old Cr * Bi
s_lshl_b32  s56, s[sgprStrideD1J], 3               // incToNextRow: Scale by BPE
s_add_u32  s[sgprSrdD+0], s[sgprSrdD+0], s56       // incToNextRow: gra SRD += inc(lower)
s_addc_u32  s[sgprSrdD+1], s[sgprSrdD+1], 0        // incToNextRow: gra SRD += inc(upper)
_buffer_store_b128 v[12:15], v6, s[sgprSrdD:sgprSrdD+3], 0, offen, offset:0,  nt // store D

s_waitcnt vmcnt(3)                                 // wait C (interleaved) 3 = 4 - 1 + 1 - 1
_v_mac_f32 v[vgprValuC+20], v16, s[sgprBeta]       // finalSum Cr += old Cr * Br
_v_mac_f32 v[vgprValuC+20], v17, -s[sgprBeta+1]    // finalSum Cr += old Ci * -Bi
_v_mac_f32 v[vgprValuC+21], v17, s[sgprBeta]       // finalSum Ci += old Ci * Br
_v_mac_f32 v[vgprValuC+21], v16, s[sgprBeta+1]     // finalSum Ci += old Cr * Bi
_v_mac_f32 v[vgprValuC+22], v18, s[sgprBeta]       // finalSum Cr += old Cr * Br
_v_mac_f32 v[vgprValuC+22], v19, -s[sgprBeta+1]    // finalSum Cr += old Ci * -Bi
_v_mac_f32 v[vgprValuC+23], v19, s[sgprBeta]       // finalSum Ci += old Ci * Br
_v_mac_f32 v[vgprValuC+23], v18, s[sgprBeta+1]     // finalSum Ci += old Cr * Bi
_buffer_store_b128 v[20:23], v6, s[sgprSrdD:sgprSrdD+3], 0, offen, offset:1024,  nt // store D

s_waitcnt vmcnt(3)                                 // wait C (interleaved) 3 = 4 - 2 + 2 - 1
_v_mac_f32 v[vgprValuC+28], v24, s[sgprBeta]       // finalSum Cr += old Cr * Br
_v_mac_f32 v[vgprValuC+28], v25, -s[sgprBeta+1]    // finalSum Cr += old Ci * -Bi
_v_mac_f32 v[vgprValuC+29], v25, s[sgprBeta]       // finalSum Ci += old Ci * Br
_v_mac_f32 v[vgprValuC+29], v24, s[sgprBeta+1]     // finalSum Ci += old Cr * Bi
_v_mac_f32 v[vgprValuC+30], v26, s[sgprBeta]       // finalSum Cr += old Cr * Br
_v_mac_f32 v[vgprValuC+30], v27, -s[sgprBeta+1]    // finalSum Cr += old Ci * -Bi
_v_mac_f32 v[vgprValuC+31], v27, s[sgprBeta]       // finalSum Ci += old Ci * Br
_v_mac_f32 v[vgprValuC+31], v26, s[sgprBeta+1]     // finalSum Ci += old Cr * Bi
s_lshl_b32  s56, s[sgprStrideD1J], 3               // incToNextRow: Scale by BPE
s_add_u32  s[sgprSrdD+0], s[sgprSrdD+0], s56       // incToNextRow: gra SRD += inc(lower)
s_addc_u32  s[sgprSrdD+1], s[sgprSrdD+1], 0        // incToNextRow: gra SRD += inc(upper)
_buffer_store_b128 v[28:31], v6, s[sgprSrdD:sgprSrdD+3], 0, offen, offset:0,  nt // store D

s_waitcnt vmcnt(3)                                 // wait C (interleaved) 3 = 4 - 3 + 3 - 1
_v_mac_f32 v[vgprValuC+36], v32, s[sgprBeta]       // finalSum Cr += old Cr * Br
_v_mac_f32 v[vgprValuC+36], v33, -s[sgprBeta+1]    // finalSum Cr += old Ci * -Bi
_v_mac_f32 v[vgprValuC+37], v33, s[sgprBeta]       // finalSum Ci += old Ci * Br
_v_mac_f32 v[vgprValuC+37], v32, s[sgprBeta+1]     // finalSum Ci += old Cr * Bi
_v_mac_f32 v[vgprValuC+38], v34, s[sgprBeta]       // finalSum Cr += old Cr * Br
_v_mac_f32 v[vgprValuC+38], v35, -s[sgprBeta+1]    // finalSum Cr += old Ci * -Bi
_v_mac_f32 v[vgprValuC+39], v35, s[sgprBeta]       // finalSum Ci += old Ci * Br
_v_mac_f32 v[vgprValuC+39], v34, s[sgprBeta+1]     // finalSum Ci += old Cr * Bi
_buffer_store_b128 v[36:39], v6, s[sgprSrdD:sgprSrdD+3], 0, offen, offset:1024,  nt // store D
s_nop 0                                            // 1 wait state required when next inst writes vgprs held by previous dwordx4 store inst
s_branch label_GW_End_44                           // jump to end
GW_B1_E1_43:

/* edge=1, allocate 6 sgpr. perBatchTmpS=4 perBatchMaskS=2 perElementMaskS=0 elementsPerBatch=4 */
/* optSingleColVgpr=0 optSharedColVgpr=0 optSGPRUsage=BufferLoad_Edge_Mask optSrdIncForRow=0 */
s_sleep 3 // optimization: sync and wait
s_barrier

/******************************************/
/* Global Write Alpha Beta Edge Batch #0 (d1,d0,vc1,vc0) = */
/*    (0,0,0,0:vw1); (0,0,0,1:vw1); (0,1,0,0:vw1); (0,1,0,1:vw1) */
/******************************************/

/* calc coords, apply mask, and issue loads (if necessary) */
/* (d1,vc1,d0,vc0)=(0,0,0,0) */
v_cmp_lt_u32 s[56:57], v0, s[sgprSizeI]            // coord0 < size0
v_cmp_lt_u32 s[60:61], v1, s[sgprSizeJ]            // coord1 < size1
s_and_b64 s[60:61], s[56:57], s[60:61]             // in0 && in1
_v_add_lshl_u32 v6, v2, v0, 0x3                    // scaleToBpe: accumulate d0 lower and *= bpe into Cin addr
v_cndmask_b32 v6, -1, v6, s[60:61]                 // LDC clip if OOB. offset
_buffer_load_b64 v[8:9], v6, s[sgprSrdC:sgprSrdC+3], 0, offen offset:0,  nt // load C for beta calc
_v_add_lshl_u32 v6, v3, v0, 0x3                    // scaleToBpe: accumulate d0 lower and *= bpe into Cin addr
v_cndmask_b32 v6, -1, v6, s[60:61]                 // LDD clip if OOB. offset
/* (d1,vc1,d0,vc0)=(0,0,0,1) */
_v_add_co_u32 v4, vcc, v0, 1                       // coord0.1: coord0 += d0*sg0*VW + vc0
v_cmp_lt_u32 s[56:57], v4, s[sgprSizeI]            // coord0 < size0
v_cmp_lt_u32 s[60:61], v1, s[sgprSizeJ]            // coord1 < size1
s_and_b64 s[60:61], s[56:57], s[60:61]             // in0 && in1
_v_add_lshl_u32 v7, v2, v4, 0x3                    // scaleToBpe: accumulate d0 lower and *= bpe into Cin addr
v_cndmask_b32 v7, -1, v7, s[60:61]                 // LDC clip if OOB. offset
_buffer_load_b64 v[12:13], v7, s[sgprSrdC:sgprSrdC+3], 0, offen offset:0,  nt // load C for beta calc
_v_add_lshl_u32 v7, v3, v4, 0x3                    // scaleToBpe: accumulate d0 lower and *= bpe into Cin addr
v_cndmask_b32 v7, -1, v7, s[60:61]                 // LDD clip if OOB. offset
/* (d1,vc1,d0,vc0)=(0,0,1,0) */
s_mov_b32 s56, 128                                 // coordOffset0 d0=1 vc0=0
_v_add_co_u32 v4, vcc, v0, s56                     // coord0.2: coord0 += d0*sg0*VW + vc0
v_cmp_lt_u32 s[56:57], v4, s[sgprSizeI]            // coord0 < size0
v_cmp_lt_u32 s[60:61], v1, s[sgprSizeJ]            // coord1 < size1
s_and_b64 s[60:61], s[56:57], s[60:61]             // in0 && in1
_v_add_lshl_u32 v16, v2, v4, 0x3                   // scaleToBpe: accumulate d0 lower and *= bpe into Cin addr
v_cndmask_b32 v16, -1, v16, s[60:61]               // LDC clip if OOB. offset
_buffer_load_b64 v[18:19], v16, s[sgprSrdC:sgprSrdC+3], 0, offen offset:0,  nt // load C for beta calc
_v_add_lshl_u32 v16, v3, v4, 0x3                   // scaleToBpe: accumulate d0 lower and *= bpe into Cin addr
v_cndmask_b32 v16, -1, v16, s[60:61]               // LDD clip if OOB. offset
/* (d1,vc1,d0,vc0)=(0,0,1,1) */
s_mov_b32 s56, 129                                 // coordOffset0 d0=1 vc0=1
_v_add_co_u32 v4, vcc, v0, s56                     // coord0.2: coord0 += d0*sg0*VW + vc0
v_cmp_lt_u32 s[56:57], v4, s[sgprSizeI]            // coord0 < size0
v_cmp_lt_u32 s[60:61], v1, s[sgprSizeJ]            // coord1 < size1
s_and_b64 s[60:61], s[56:57], s[60:61]             // in0 && in1
_v_add_lshl_u32 v17, v2, v4, 0x3                   // scaleToBpe: accumulate d0 lower and *= bpe into Cin addr
v_cndmask_b32 v17, -1, v17, s[60:61]               // LDC clip if OOB. offset
_buffer_load_b64 v[22:23], v17, s[sgprSrdC:sgprSrdC+3], 0, offen offset:0,  nt // load C for beta calc
_v_add_lshl_u32 v17, v3, v4, 0x3                   // scaleToBpe: accumulate d0 lower and *= bpe into Cin addr
v_cndmask_b32 v17, -1, v17, s[60:61]               // LDD clip if OOB. offset
s_sleep 3 // optimization: sync and wait
s_barrier
v_accvgpr_read_b32 v[vgprValuC+10], acc0 // copy acc to vreg[0]
v_accvgpr_read_b32 v[vgprValuC+11], acc112 // copy acc to vreg[1]
v_accvgpr_read_b32 v[vgprValuC+14], acc4 // copy acc to vreg[2]
v_accvgpr_read_b32 v[vgprValuC+15], acc116 // copy acc to vreg[3]
v_accvgpr_read_b32 v[vgprValuC+20], acc8 // copy acc to vreg[4]
v_accvgpr_read_b32 v[vgprValuC+21], acc120 // copy acc to vreg[5]
v_accvgpr_read_b32 v[vgprValuC+24], acc12 // copy acc to vreg[6]
v_accvgpr_read_b32 v[vgprValuC+25], acc124 // copy acc to vreg[7]
s_nop 1                                            // 2 wait states required before reading vgpr

/* rC *= alpha batchElements=[(0, 0, 0, 0), (0, 0, 0, 1), (0, 1, 0, 0), (0, 1, 0, 1)] */
v_mov_b32 v26, v[vgprValuC+10]                     // store Cr
v_mul_f32 v[vgprValuC+10], s[sgprAlpha], v[vgprValuC+10] // *= alpha ( Cr = Ar * Cr)
_v_mac_f32 v[vgprValuC+10], -s[sgprAlpha+1], v[vgprValuC+11] // *= alpha ( Cr += -Ai * Ci )
v_mul_f32 v[vgprValuC+11], s[sgprAlpha], v[vgprValuC+11] // *= alpha ( Ci = Ar * Ci)
_v_mac_f32 v[vgprValuC+11], s[sgprAlpha+1], v26    // *= alpha ( Ci += Ai * Cr_backup )
v_mov_b32 v26, v[vgprValuC+14]                     // store Cr
v_mul_f32 v[vgprValuC+14], s[sgprAlpha], v[vgprValuC+14] // *= alpha ( Cr = Ar * Cr)
_v_mac_f32 v[vgprValuC+14], -s[sgprAlpha+1], v[vgprValuC+15] // *= alpha ( Cr += -Ai * Ci )
v_mul_f32 v[vgprValuC+15], s[sgprAlpha], v[vgprValuC+15] // *= alpha ( Ci = Ar * Ci)
_v_mac_f32 v[vgprValuC+15], s[sgprAlpha+1], v26    // *= alpha ( Ci += Ai * Cr_backup )
v_mov_b32 v26, v[vgprValuC+20]                     // store Cr
v_mul_f32 v[vgprValuC+20], s[sgprAlpha], v[vgprValuC+20] // *= alpha ( Cr = Ar * Cr)
_v_mac_f32 v[vgprValuC+20], -s[sgprAlpha+1], v[vgprValuC+21] // *= alpha ( Cr += -Ai * Ci )
v_mul_f32 v[vgprValuC+21], s[sgprAlpha], v[vgprValuC+21] // *= alpha ( Ci = Ar * Ci)
_v_mac_f32 v[vgprValuC+21], s[sgprAlpha+1], v26    // *= alpha ( Ci += Ai * Cr_backup )
v_mov_b32 v26, v[vgprValuC+24]                     // store Cr
v_mul_f32 v[vgprValuC+24], s[sgprAlpha], v[vgprValuC+24] // *= alpha ( Cr = Ar * Cr)
_v_mac_f32 v[vgprValuC+24], -s[sgprAlpha+1], v[vgprValuC+25] // *= alpha ( Cr += -Ai * Ci )
v_mul_f32 v[vgprValuC+25], s[sgprAlpha], v[vgprValuC+25] // *= alpha ( Ci = Ar * Ci)
_v_mac_f32 v[vgprValuC+25], s[sgprAlpha+1], v26    // *= alpha ( Ci += Ai * Cr_backup )
s_waitcnt vmcnt(0)                                 // wait C

/* apply mask, calc new C and issue writes */
_v_mac_f32 v[vgprValuC+10], v8, s[sgprBeta]        // finalSum Cr += old Cr * Br
_v_mac_f32 v[vgprValuC+10], v9, -s[sgprBeta+1]     // finalSum Cr += old Ci * -Bi
_v_mac_f32 v[vgprValuC+11], v9, s[sgprBeta]        // finalSum Ci += old Ci * Br
_v_mac_f32 v[vgprValuC+11], v8, s[sgprBeta+1]      // finalSum Ci += old Cr * Bi
_buffer_store_b64 v[10:11], v6, s[sgprSrdD:sgprSrdD+3], 0, offen, offset:0,  nt // store D
_v_mac_f32 v[vgprValuC+14], v12, s[sgprBeta]       // finalSum Cr += old Cr * Br
_v_mac_f32 v[vgprValuC+14], v13, -s[sgprBeta+1]    // finalSum Cr += old Ci * -Bi
_v_mac_f32 v[vgprValuC+15], v13, s[sgprBeta]       // finalSum Ci += old Ci * Br
_v_mac_f32 v[vgprValuC+15], v12, s[sgprBeta+1]     // finalSum Ci += old Cr * Bi
_buffer_store_b64 v[14:15], v7, s[sgprSrdD:sgprSrdD+3], 0, offen, offset:0,  nt // store D
_v_mac_f32 v[vgprValuC+20], v18, s[sgprBeta]       // finalSum Cr += old Cr * Br
_v_mac_f32 v[vgprValuC+20], v19, -s[sgprBeta+1]    // finalSum Cr += old Ci * -Bi
_v_mac_f32 v[vgprValuC+21], v19, s[sgprBeta]       // finalSum Ci += old Ci * Br
_v_mac_f32 v[vgprValuC+21], v18, s[sgprBeta+1]     // finalSum Ci += old Cr * Bi
	;; [unrolled: 5-line block ×3, first 2 shown]
_buffer_store_b64 v[24:25], v17, s[sgprSrdD:sgprSrdD+3], 0, offen, offset:0,  nt // store D
s_nop 0                                            // 1 wait state required when next inst writes vgprs held by previous dwordx4 store inst
/* optSingleColVgpr=0 optSharedColVgpr=0 optSGPRUsage=BufferLoad_Edge_Mask optSrdIncForRow=0 */
s_sleep 3 // optimization: sync and wait
s_barrier

/******************************************/
/* Global Write Alpha Beta Edge Batch #1 (d1,d0,vc1,vc0) = */
/*    (0,0,1,0:vw1); (0,0,1,1:vw1); (0,1,1,0:vw1); (0,1,1,1:vw1) */
/******************************************/

/* calc coords, apply mask, and issue loads (if necessary) */
/* (d1,vc1,d0,vc0)=(0,1,0,0) */
_v_add_co_u32 v1, vcc, v1, 1                       // coord1.1: coord1Vgpr += d1*sg1*VW + vc1

/* Fix for UseInitialStridesCD, emitAddressSetupCode */
_v_add_u32 v2, v2, s[sgprStrideC1J]                // ROWINC- Move cinRowPtr to next row
_v_add_u32 v3, v3, s[sgprStrideD1J]                // Move coutRowPtr to next row
v_cmp_lt_u32 s[56:57], v0, s[sgprSizeI]            // coord0 < size0
v_cmp_lt_u32 s[60:61], v1, s[sgprSizeJ]            // coord1 < size1
s_and_b64 s[60:61], s[56:57], s[60:61]             // in0 && in1
_v_add_lshl_u32 v6, v2, v0, 0x3                    // scaleToBpe: accumulate d0 lower and *= bpe into Cin addr
v_cndmask_b32 v6, -1, v6, s[60:61]                 // LDC clip if OOB. offset
_buffer_load_b64 v[8:9], v6, s[sgprSrdC:sgprSrdC+3], 0, offen offset:0,  nt // load C for beta calc
_v_add_lshl_u32 v6, v3, v0, 0x3                    // scaleToBpe: accumulate d0 lower and *= bpe into Cin addr
v_cndmask_b32 v6, -1, v6, s[60:61]                 // LDD clip if OOB. offset
/* (d1,vc1,d0,vc0)=(0,1,0,1) */
_v_add_co_u32 v4, vcc, v0, 1                       // coord0.1: coord0 += d0*sg0*VW + vc0
v_cmp_lt_u32 s[56:57], v4, s[sgprSizeI]            // coord0 < size0
v_cmp_lt_u32 s[60:61], v1, s[sgprSizeJ]            // coord1 < size1
s_and_b64 s[60:61], s[56:57], s[60:61]             // in0 && in1
_v_add_lshl_u32 v7, v2, v4, 0x3                    // scaleToBpe: accumulate d0 lower and *= bpe into Cin addr
v_cndmask_b32 v7, -1, v7, s[60:61]                 // LDC clip if OOB. offset
_buffer_load_b64 v[12:13], v7, s[sgprSrdC:sgprSrdC+3], 0, offen offset:0,  nt // load C for beta calc
_v_add_lshl_u32 v7, v3, v4, 0x3                    // scaleToBpe: accumulate d0 lower and *= bpe into Cin addr
v_cndmask_b32 v7, -1, v7, s[60:61]                 // LDD clip if OOB. offset
/* (d1,vc1,d0,vc0)=(0,1,1,0) */
s_mov_b32 s56, 128                                 // coordOffset0 d0=1 vc0=0
_v_add_co_u32 v4, vcc, v0, s56                     // coord0.2: coord0 += d0*sg0*VW + vc0
v_cmp_lt_u32 s[56:57], v4, s[sgprSizeI]            // coord0 < size0
v_cmp_lt_u32 s[60:61], v1, s[sgprSizeJ]            // coord1 < size1
s_and_b64 s[60:61], s[56:57], s[60:61]             // in0 && in1
_v_add_lshl_u32 v16, v2, v4, 0x3                   // scaleToBpe: accumulate d0 lower and *= bpe into Cin addr
v_cndmask_b32 v16, -1, v16, s[60:61]               // LDC clip if OOB. offset
_buffer_load_b64 v[18:19], v16, s[sgprSrdC:sgprSrdC+3], 0, offen offset:0,  nt // load C for beta calc
_v_add_lshl_u32 v16, v3, v4, 0x3                   // scaleToBpe: accumulate d0 lower and *= bpe into Cin addr
v_cndmask_b32 v16, -1, v16, s[60:61]               // LDD clip if OOB. offset
/* (d1,vc1,d0,vc0)=(0,1,1,1) */
s_mov_b32 s56, 129                                 // coordOffset0 d0=1 vc0=1
_v_add_co_u32 v4, vcc, v0, s56                     // coord0.2: coord0 += d0*sg0*VW + vc0
v_cmp_lt_u32 s[56:57], v4, s[sgprSizeI]            // coord0 < size0
v_cmp_lt_u32 s[60:61], v1, s[sgprSizeJ]            // coord1 < size1
s_and_b64 s[60:61], s[56:57], s[60:61]             // in0 && in1
_v_add_lshl_u32 v17, v2, v4, 0x3                   // scaleToBpe: accumulate d0 lower and *= bpe into Cin addr
v_cndmask_b32 v17, -1, v17, s[60:61]               // LDC clip if OOB. offset
_buffer_load_b64 v[22:23], v17, s[sgprSrdC:sgprSrdC+3], 0, offen offset:0,  nt // load C for beta calc
_v_add_lshl_u32 v17, v3, v4, 0x3                   // scaleToBpe: accumulate d0 lower and *= bpe into Cin addr
v_cndmask_b32 v17, -1, v17, s[60:61]               // LDD clip if OOB. offset
s_sleep 3 // optimization: sync and wait
s_barrier
v_accvgpr_read_b32 v[vgprValuC+10], acc1 // copy acc to vreg[8]
v_accvgpr_read_b32 v[vgprValuC+11], acc113 // copy acc to vreg[9]
v_accvgpr_read_b32 v[vgprValuC+14], acc5 // copy acc to vreg[10]
v_accvgpr_read_b32 v[vgprValuC+15], acc117 // copy acc to vreg[11]
v_accvgpr_read_b32 v[vgprValuC+20], acc9 // copy acc to vreg[12]
v_accvgpr_read_b32 v[vgprValuC+21], acc121 // copy acc to vreg[13]
v_accvgpr_read_b32 v[vgprValuC+24], acc13 // copy acc to vreg[14]
v_accvgpr_read_b32 v[vgprValuC+25], acc125 // copy acc to vreg[15]
s_nop 1                                            // 2 wait states required before reading vgpr

/* rC *= alpha batchElements=[(0, 0, 1, 0), (0, 0, 1, 1), (0, 1, 1, 0), (0, 1, 1, 1)] */
v_mov_b32 v26, v[vgprValuC+10]                     // store Cr
v_mul_f32 v[vgprValuC+10], s[sgprAlpha], v[vgprValuC+10] // *= alpha ( Cr = Ar * Cr)
_v_mac_f32 v[vgprValuC+10], -s[sgprAlpha+1], v[vgprValuC+11] // *= alpha ( Cr += -Ai * Ci )
v_mul_f32 v[vgprValuC+11], s[sgprAlpha], v[vgprValuC+11] // *= alpha ( Ci = Ar * Ci)
_v_mac_f32 v[vgprValuC+11], s[sgprAlpha+1], v26    // *= alpha ( Ci += Ai * Cr_backup )
v_mov_b32 v26, v[vgprValuC+14]                     // store Cr
v_mul_f32 v[vgprValuC+14], s[sgprAlpha], v[vgprValuC+14] // *= alpha ( Cr = Ar * Cr)
_v_mac_f32 v[vgprValuC+14], -s[sgprAlpha+1], v[vgprValuC+15] // *= alpha ( Cr += -Ai * Ci )
v_mul_f32 v[vgprValuC+15], s[sgprAlpha], v[vgprValuC+15] // *= alpha ( Ci = Ar * Ci)
_v_mac_f32 v[vgprValuC+15], s[sgprAlpha+1], v26    // *= alpha ( Ci += Ai * Cr_backup )
	;; [unrolled: 5-line block ×4, first 2 shown]
s_waitcnt vmcnt(0)                                 // wait C

/* apply mask, calc new C and issue writes */
_v_mac_f32 v[vgprValuC+10], v8, s[sgprBeta]        // finalSum Cr += old Cr * Br
_v_mac_f32 v[vgprValuC+10], v9, -s[sgprBeta+1]     // finalSum Cr += old Ci * -Bi
_v_mac_f32 v[vgprValuC+11], v9, s[sgprBeta]        // finalSum Ci += old Ci * Br
_v_mac_f32 v[vgprValuC+11], v8, s[sgprBeta+1]      // finalSum Ci += old Cr * Bi
_buffer_store_b64 v[10:11], v6, s[sgprSrdD:sgprSrdD+3], 0, offen, offset:0,  nt // store D
_v_mac_f32 v[vgprValuC+14], v12, s[sgprBeta]       // finalSum Cr += old Cr * Br
_v_mac_f32 v[vgprValuC+14], v13, -s[sgprBeta+1]    // finalSum Cr += old Ci * -Bi
_v_mac_f32 v[vgprValuC+15], v13, s[sgprBeta]       // finalSum Ci += old Ci * Br
_v_mac_f32 v[vgprValuC+15], v12, s[sgprBeta+1]     // finalSum Ci += old Cr * Bi
_buffer_store_b64 v[14:15], v7, s[sgprSrdD:sgprSrdD+3], 0, offen, offset:0,  nt // store D
_v_mac_f32 v[vgprValuC+20], v18, s[sgprBeta]       // finalSum Cr += old Cr * Br
_v_mac_f32 v[vgprValuC+20], v19, -s[sgprBeta+1]    // finalSum Cr += old Ci * -Bi
_v_mac_f32 v[vgprValuC+21], v19, s[sgprBeta]       // finalSum Ci += old Ci * Br
_v_mac_f32 v[vgprValuC+21], v18, s[sgprBeta+1]     // finalSum Ci += old Cr * Bi
	;; [unrolled: 5-line block ×3, first 2 shown]
_buffer_store_b64 v[24:25], v17, s[sgprSrdD:sgprSrdD+3], 0, offen, offset:0,  nt // store D
s_nop 0                                            // 1 wait state required when next inst writes vgprs held by previous dwordx4 store inst
/* optSingleColVgpr=0 optSharedColVgpr=0 optSGPRUsage=BufferLoad_Edge_Mask optSrdIncForRow=0 */
s_sleep 3 // optimization: sync and wait
s_barrier

/******************************************/
/* Global Write Alpha Beta Edge Batch #2 (d1,d0,vc1,vc0) = */
/*    (0,0,2,0:vw1); (0,0,2,1:vw1); (0,1,2,0:vw1); (0,1,2,1:vw1) */
/******************************************/

/* calc coords, apply mask, and issue loads (if necessary) */
/* (d1,vc1,d0,vc0)=(0,2,0,0) */
_v_add_co_u32 v1, vcc, v1, 1                       // coord1.1: coord1Vgpr += d1*sg1*VW + vc1

/* Fix for UseInitialStridesCD, emitAddressSetupCode */
_v_add_u32 v2, v2, s[sgprStrideC1J]                // ROWINC- Move cinRowPtr to next row
_v_add_u32 v3, v3, s[sgprStrideD1J]                // Move coutRowPtr to next row
v_cmp_lt_u32 s[56:57], v0, s[sgprSizeI]            // coord0 < size0
v_cmp_lt_u32 s[60:61], v1, s[sgprSizeJ]            // coord1 < size1
s_and_b64 s[60:61], s[56:57], s[60:61]             // in0 && in1
_v_add_lshl_u32 v6, v2, v0, 0x3                    // scaleToBpe: accumulate d0 lower and *= bpe into Cin addr
v_cndmask_b32 v6, -1, v6, s[60:61]                 // LDC clip if OOB. offset
_buffer_load_b64 v[8:9], v6, s[sgprSrdC:sgprSrdC+3], 0, offen offset:0,  nt // load C for beta calc
_v_add_lshl_u32 v6, v3, v0, 0x3                    // scaleToBpe: accumulate d0 lower and *= bpe into Cin addr
v_cndmask_b32 v6, -1, v6, s[60:61]                 // LDD clip if OOB. offset
/* (d1,vc1,d0,vc0)=(0,2,0,1) */
_v_add_co_u32 v4, vcc, v0, 1                       // coord0.1: coord0 += d0*sg0*VW + vc0
v_cmp_lt_u32 s[56:57], v4, s[sgprSizeI]            // coord0 < size0
v_cmp_lt_u32 s[60:61], v1, s[sgprSizeJ]            // coord1 < size1
s_and_b64 s[60:61], s[56:57], s[60:61]             // in0 && in1
_v_add_lshl_u32 v7, v2, v4, 0x3                    // scaleToBpe: accumulate d0 lower and *= bpe into Cin addr
v_cndmask_b32 v7, -1, v7, s[60:61]                 // LDC clip if OOB. offset
_buffer_load_b64 v[12:13], v7, s[sgprSrdC:sgprSrdC+3], 0, offen offset:0,  nt // load C for beta calc
_v_add_lshl_u32 v7, v3, v4, 0x3                    // scaleToBpe: accumulate d0 lower and *= bpe into Cin addr
v_cndmask_b32 v7, -1, v7, s[60:61]                 // LDD clip if OOB. offset
/* (d1,vc1,d0,vc0)=(0,2,1,0) */
s_mov_b32 s56, 128                                 // coordOffset0 d0=1 vc0=0
_v_add_co_u32 v4, vcc, v0, s56                     // coord0.2: coord0 += d0*sg0*VW + vc0
v_cmp_lt_u32 s[56:57], v4, s[sgprSizeI]            // coord0 < size0
v_cmp_lt_u32 s[60:61], v1, s[sgprSizeJ]            // coord1 < size1
s_and_b64 s[60:61], s[56:57], s[60:61]             // in0 && in1
_v_add_lshl_u32 v16, v2, v4, 0x3                   // scaleToBpe: accumulate d0 lower and *= bpe into Cin addr
v_cndmask_b32 v16, -1, v16, s[60:61]               // LDC clip if OOB. offset
_buffer_load_b64 v[18:19], v16, s[sgprSrdC:sgprSrdC+3], 0, offen offset:0,  nt // load C for beta calc
_v_add_lshl_u32 v16, v3, v4, 0x3                   // scaleToBpe: accumulate d0 lower and *= bpe into Cin addr
v_cndmask_b32 v16, -1, v16, s[60:61]               // LDD clip if OOB. offset
/* (d1,vc1,d0,vc0)=(0,2,1,1) */
s_mov_b32 s56, 129                                 // coordOffset0 d0=1 vc0=1
_v_add_co_u32 v4, vcc, v0, s56                     // coord0.2: coord0 += d0*sg0*VW + vc0
v_cmp_lt_u32 s[56:57], v4, s[sgprSizeI]            // coord0 < size0
v_cmp_lt_u32 s[60:61], v1, s[sgprSizeJ]            // coord1 < size1
s_and_b64 s[60:61], s[56:57], s[60:61]             // in0 && in1
_v_add_lshl_u32 v17, v2, v4, 0x3                   // scaleToBpe: accumulate d0 lower and *= bpe into Cin addr
v_cndmask_b32 v17, -1, v17, s[60:61]               // LDC clip if OOB. offset
_buffer_load_b64 v[22:23], v17, s[sgprSrdC:sgprSrdC+3], 0, offen offset:0,  nt // load C for beta calc
_v_add_lshl_u32 v17, v3, v4, 0x3                   // scaleToBpe: accumulate d0 lower and *= bpe into Cin addr
v_cndmask_b32 v17, -1, v17, s[60:61]               // LDD clip if OOB. offset
s_sleep 3 // optimization: sync and wait
s_barrier
v_accvgpr_read_b32 v[vgprValuC+10], acc2 // copy acc to vreg[16]
v_accvgpr_read_b32 v[vgprValuC+11], acc114 // copy acc to vreg[17]
v_accvgpr_read_b32 v[vgprValuC+14], acc6 // copy acc to vreg[18]
v_accvgpr_read_b32 v[vgprValuC+15], acc118 // copy acc to vreg[19]
v_accvgpr_read_b32 v[vgprValuC+20], acc10 // copy acc to vreg[20]
v_accvgpr_read_b32 v[vgprValuC+21], acc122 // copy acc to vreg[21]
v_accvgpr_read_b32 v[vgprValuC+24], acc14 // copy acc to vreg[22]
v_accvgpr_read_b32 v[vgprValuC+25], acc126 // copy acc to vreg[23]
s_nop 1                                            // 2 wait states required before reading vgpr

/* rC *= alpha batchElements=[(0, 0, 2, 0), (0, 0, 2, 1), (0, 1, 2, 0), (0, 1, 2, 1)] */
v_mov_b32 v26, v[vgprValuC+10]                     // store Cr
v_mul_f32 v[vgprValuC+10], s[sgprAlpha], v[vgprValuC+10] // *= alpha ( Cr = Ar * Cr)
_v_mac_f32 v[vgprValuC+10], -s[sgprAlpha+1], v[vgprValuC+11] // *= alpha ( Cr += -Ai * Ci )
v_mul_f32 v[vgprValuC+11], s[sgprAlpha], v[vgprValuC+11] // *= alpha ( Ci = Ar * Ci)
_v_mac_f32 v[vgprValuC+11], s[sgprAlpha+1], v26    // *= alpha ( Ci += Ai * Cr_backup )
v_mov_b32 v26, v[vgprValuC+14]                     // store Cr
v_mul_f32 v[vgprValuC+14], s[sgprAlpha], v[vgprValuC+14] // *= alpha ( Cr = Ar * Cr)
_v_mac_f32 v[vgprValuC+14], -s[sgprAlpha+1], v[vgprValuC+15] // *= alpha ( Cr += -Ai * Ci )
v_mul_f32 v[vgprValuC+15], s[sgprAlpha], v[vgprValuC+15] // *= alpha ( Ci = Ar * Ci)
_v_mac_f32 v[vgprValuC+15], s[sgprAlpha+1], v26    // *= alpha ( Ci += Ai * Cr_backup )
	;; [unrolled: 5-line block ×4, first 2 shown]
s_waitcnt vmcnt(0)                                 // wait C

/* apply mask, calc new C and issue writes */
_v_mac_f32 v[vgprValuC+10], v8, s[sgprBeta]        // finalSum Cr += old Cr * Br
_v_mac_f32 v[vgprValuC+10], v9, -s[sgprBeta+1]     // finalSum Cr += old Ci * -Bi
_v_mac_f32 v[vgprValuC+11], v9, s[sgprBeta]        // finalSum Ci += old Ci * Br
_v_mac_f32 v[vgprValuC+11], v8, s[sgprBeta+1]      // finalSum Ci += old Cr * Bi
_buffer_store_b64 v[10:11], v6, s[sgprSrdD:sgprSrdD+3], 0, offen, offset:0,  nt // store D
_v_mac_f32 v[vgprValuC+14], v12, s[sgprBeta]       // finalSum Cr += old Cr * Br
_v_mac_f32 v[vgprValuC+14], v13, -s[sgprBeta+1]    // finalSum Cr += old Ci * -Bi
_v_mac_f32 v[vgprValuC+15], v13, s[sgprBeta]       // finalSum Ci += old Ci * Br
_v_mac_f32 v[vgprValuC+15], v12, s[sgprBeta+1]     // finalSum Ci += old Cr * Bi
_buffer_store_b64 v[14:15], v7, s[sgprSrdD:sgprSrdD+3], 0, offen, offset:0,  nt // store D
_v_mac_f32 v[vgprValuC+20], v18, s[sgprBeta]       // finalSum Cr += old Cr * Br
_v_mac_f32 v[vgprValuC+20], v19, -s[sgprBeta+1]    // finalSum Cr += old Ci * -Bi
_v_mac_f32 v[vgprValuC+21], v19, s[sgprBeta]       // finalSum Ci += old Ci * Br
_v_mac_f32 v[vgprValuC+21], v18, s[sgprBeta+1]     // finalSum Ci += old Cr * Bi
	;; [unrolled: 5-line block ×3, first 2 shown]
_buffer_store_b64 v[24:25], v17, s[sgprSrdD:sgprSrdD+3], 0, offen, offset:0,  nt // store D
s_nop 0                                            // 1 wait state required when next inst writes vgprs held by previous dwordx4 store inst
/* optSingleColVgpr=0 optSharedColVgpr=0 optSGPRUsage=BufferLoad_Edge_Mask optSrdIncForRow=0 */
s_sleep 3 // optimization: sync and wait
s_barrier

/******************************************/
/* Global Write Alpha Beta Edge Batch #3 (d1,d0,vc1,vc0) = */
/*    (0,0,3,0:vw1); (0,0,3,1:vw1); (0,1,3,0:vw1); (0,1,3,1:vw1) */
/******************************************/

/* calc coords, apply mask, and issue loads (if necessary) */
/* (d1,vc1,d0,vc0)=(0,3,0,0) */
_v_add_co_u32 v1, vcc, v1, 1                       // coord1.1: coord1Vgpr += d1*sg1*VW + vc1

/* Fix for UseInitialStridesCD, emitAddressSetupCode */
_v_add_u32 v2, v2, s[sgprStrideC1J]                // ROWINC- Move cinRowPtr to next row
_v_add_u32 v3, v3, s[sgprStrideD1J]                // Move coutRowPtr to next row
v_cmp_lt_u32 s[56:57], v0, s[sgprSizeI]            // coord0 < size0
v_cmp_lt_u32 s[60:61], v1, s[sgprSizeJ]            // coord1 < size1
s_and_b64 s[60:61], s[56:57], s[60:61]             // in0 && in1
_v_add_lshl_u32 v6, v2, v0, 0x3                    // scaleToBpe: accumulate d0 lower and *= bpe into Cin addr
v_cndmask_b32 v6, -1, v6, s[60:61]                 // LDC clip if OOB. offset
_buffer_load_b64 v[8:9], v6, s[sgprSrdC:sgprSrdC+3], 0, offen offset:0,  nt // load C for beta calc
_v_add_lshl_u32 v6, v3, v0, 0x3                    // scaleToBpe: accumulate d0 lower and *= bpe into Cin addr
v_cndmask_b32 v6, -1, v6, s[60:61]                 // LDD clip if OOB. offset
/* (d1,vc1,d0,vc0)=(0,3,0,1) */
_v_add_co_u32 v4, vcc, v0, 1                       // coord0.1: coord0 += d0*sg0*VW + vc0
v_cmp_lt_u32 s[56:57], v4, s[sgprSizeI]            // coord0 < size0
v_cmp_lt_u32 s[60:61], v1, s[sgprSizeJ]            // coord1 < size1
s_and_b64 s[60:61], s[56:57], s[60:61]             // in0 && in1
_v_add_lshl_u32 v7, v2, v4, 0x3                    // scaleToBpe: accumulate d0 lower and *= bpe into Cin addr
v_cndmask_b32 v7, -1, v7, s[60:61]                 // LDC clip if OOB. offset
_buffer_load_b64 v[12:13], v7, s[sgprSrdC:sgprSrdC+3], 0, offen offset:0,  nt // load C for beta calc
_v_add_lshl_u32 v7, v3, v4, 0x3                    // scaleToBpe: accumulate d0 lower and *= bpe into Cin addr
v_cndmask_b32 v7, -1, v7, s[60:61]                 // LDD clip if OOB. offset
/* (d1,vc1,d0,vc0)=(0,3,1,0) */
s_mov_b32 s56, 128                                 // coordOffset0 d0=1 vc0=0
_v_add_co_u32 v4, vcc, v0, s56                     // coord0.2: coord0 += d0*sg0*VW + vc0
v_cmp_lt_u32 s[56:57], v4, s[sgprSizeI]            // coord0 < size0
v_cmp_lt_u32 s[60:61], v1, s[sgprSizeJ]            // coord1 < size1
s_and_b64 s[60:61], s[56:57], s[60:61]             // in0 && in1
_v_add_lshl_u32 v16, v2, v4, 0x3                   // scaleToBpe: accumulate d0 lower and *= bpe into Cin addr
v_cndmask_b32 v16, -1, v16, s[60:61]               // LDC clip if OOB. offset
_buffer_load_b64 v[18:19], v16, s[sgprSrdC:sgprSrdC+3], 0, offen offset:0,  nt // load C for beta calc
_v_add_lshl_u32 v16, v3, v4, 0x3                   // scaleToBpe: accumulate d0 lower and *= bpe into Cin addr
v_cndmask_b32 v16, -1, v16, s[60:61]               // LDD clip if OOB. offset
/* (d1,vc1,d0,vc0)=(0,3,1,1) */
s_mov_b32 s56, 129                                 // coordOffset0 d0=1 vc0=1
_v_add_co_u32 v4, vcc, v0, s56                     // coord0.2: coord0 += d0*sg0*VW + vc0
v_cmp_lt_u32 s[56:57], v4, s[sgprSizeI]            // coord0 < size0
v_cmp_lt_u32 s[60:61], v1, s[sgprSizeJ]            // coord1 < size1
s_and_b64 s[60:61], s[56:57], s[60:61]             // in0 && in1
_v_add_lshl_u32 v17, v2, v4, 0x3                   // scaleToBpe: accumulate d0 lower and *= bpe into Cin addr
v_cndmask_b32 v17, -1, v17, s[60:61]               // LDC clip if OOB. offset
_buffer_load_b64 v[22:23], v17, s[sgprSrdC:sgprSrdC+3], 0, offen offset:0,  nt // load C for beta calc
_v_add_lshl_u32 v17, v3, v4, 0x3                   // scaleToBpe: accumulate d0 lower and *= bpe into Cin addr
v_cndmask_b32 v17, -1, v17, s[60:61]               // LDD clip if OOB. offset
s_sleep 3 // optimization: sync and wait
s_barrier
v_accvgpr_read_b32 v[vgprValuC+10], acc3 // copy acc to vreg[24]
v_accvgpr_read_b32 v[vgprValuC+11], acc115 // copy acc to vreg[25]
v_accvgpr_read_b32 v[vgprValuC+14], acc7 // copy acc to vreg[26]
v_accvgpr_read_b32 v[vgprValuC+15], acc119 // copy acc to vreg[27]
v_accvgpr_read_b32 v[vgprValuC+20], acc11 // copy acc to vreg[28]
v_accvgpr_read_b32 v[vgprValuC+21], acc123 // copy acc to vreg[29]
v_accvgpr_read_b32 v[vgprValuC+24], acc15 // copy acc to vreg[30]
v_accvgpr_read_b32 v[vgprValuC+25], acc127 // copy acc to vreg[31]
s_nop 1                                            // 2 wait states required before reading vgpr

/* rC *= alpha batchElements=[(0, 0, 3, 0), (0, 0, 3, 1), (0, 1, 3, 0), (0, 1, 3, 1)] */
v_mov_b32 v26, v[vgprValuC+10]                     // store Cr
v_mul_f32 v[vgprValuC+10], s[sgprAlpha], v[vgprValuC+10] // *= alpha ( Cr = Ar * Cr)
_v_mac_f32 v[vgprValuC+10], -s[sgprAlpha+1], v[vgprValuC+11] // *= alpha ( Cr += -Ai * Ci )
v_mul_f32 v[vgprValuC+11], s[sgprAlpha], v[vgprValuC+11] // *= alpha ( Ci = Ar * Ci)
_v_mac_f32 v[vgprValuC+11], s[sgprAlpha+1], v26    // *= alpha ( Ci += Ai * Cr_backup )
v_mov_b32 v26, v[vgprValuC+14]                     // store Cr
v_mul_f32 v[vgprValuC+14], s[sgprAlpha], v[vgprValuC+14] // *= alpha ( Cr = Ar * Cr)
_v_mac_f32 v[vgprValuC+14], -s[sgprAlpha+1], v[vgprValuC+15] // *= alpha ( Cr += -Ai * Ci )
v_mul_f32 v[vgprValuC+15], s[sgprAlpha], v[vgprValuC+15] // *= alpha ( Ci = Ar * Ci)
_v_mac_f32 v[vgprValuC+15], s[sgprAlpha+1], v26    // *= alpha ( Ci += Ai * Cr_backup )
	;; [unrolled: 5-line block ×4, first 2 shown]
s_waitcnt vmcnt(0)                                 // wait C

/* apply mask, calc new C and issue writes */
_v_mac_f32 v[vgprValuC+10], v8, s[sgprBeta]        // finalSum Cr += old Cr * Br
_v_mac_f32 v[vgprValuC+10], v9, -s[sgprBeta+1]     // finalSum Cr += old Ci * -Bi
_v_mac_f32 v[vgprValuC+11], v9, s[sgprBeta]        // finalSum Ci += old Ci * Br
_v_mac_f32 v[vgprValuC+11], v8, s[sgprBeta+1]      // finalSum Ci += old Cr * Bi
_buffer_store_b64 v[10:11], v6, s[sgprSrdD:sgprSrdD+3], 0, offen, offset:0,  nt // store D
_v_mac_f32 v[vgprValuC+14], v12, s[sgprBeta]       // finalSum Cr += old Cr * Br
_v_mac_f32 v[vgprValuC+14], v13, -s[sgprBeta+1]    // finalSum Cr += old Ci * -Bi
_v_mac_f32 v[vgprValuC+15], v13, s[sgprBeta]       // finalSum Ci += old Ci * Br
_v_mac_f32 v[vgprValuC+15], v12, s[sgprBeta+1]     // finalSum Ci += old Cr * Bi
_buffer_store_b64 v[14:15], v7, s[sgprSrdD:sgprSrdD+3], 0, offen, offset:0,  nt // store D
_v_mac_f32 v[vgprValuC+20], v18, s[sgprBeta]       // finalSum Cr += old Cr * Br
_v_mac_f32 v[vgprValuC+20], v19, -s[sgprBeta+1]    // finalSum Cr += old Ci * -Bi
_v_mac_f32 v[vgprValuC+21], v19, s[sgprBeta]       // finalSum Ci += old Ci * Br
_v_mac_f32 v[vgprValuC+21], v18, s[sgprBeta+1]     // finalSum Ci += old Cr * Bi
_buffer_store_b64 v[20:21], v16, s[sgprSrdD:sgprSrdD+3], 0, offen, offset:0,  nt // store D
_v_mac_f32 v[vgprValuC+24], v22, s[sgprBeta]       // finalSum Cr += old Cr * Br
_v_mac_f32 v[vgprValuC+24], v23, -s[sgprBeta+1]    // finalSum Cr += old Ci * -Bi
_v_mac_f32 v[vgprValuC+25], v23, s[sgprBeta]       // finalSum Ci += old Ci * Br
_v_mac_f32 v[vgprValuC+25], v22, s[sgprBeta+1]     // finalSum Ci += old Cr * Bi
_buffer_store_b64 v[24:25], v17, s[sgprSrdD:sgprSrdD+3], 0, offen, offset:0,  nt // store D
s_nop 0                                            // 1 wait state required when next inst writes vgprs held by previous dwordx4 store inst
/* optSingleColVgpr=0 optSharedColVgpr=0 optSGPRUsage=BufferLoad_Edge_Mask optSrdIncForRow=0 */
s_sleep 3 // optimization: sync and wait
s_barrier

/******************************************/
/* Global Write Alpha Beta Edge Batch #4 (d1,d0,vc1,vc0) = */
/*    (1,0,0,0:vw1); (1,0,0,1:vw1); (1,1,0,0:vw1); (1,1,0,1:vw1) */
/******************************************/

/* calc coords, apply mask, and issue loads (if necessary) */
/* (d1,vc1,d0,vc0)=(1,0,0,0) */
_v_add_co_u32 v1, vcc, v1, 13                      // coord1.1: coord1Vgpr += d1*sg1*VW + vc1

/* Fix for UseInitialStridesCD, emitAddressSetupCode */
s_mul_i32 s56, s[sgprStrideC1J], 13                // scale stride
_v_add_u32 v2, v2, s56                             // ROWINC- Move cinRowPtr to next row
s_mul_i32 s56, s[sgprStrideD1J], 13                // scale stride
_v_add_u32 v3, v3, s56                             // Move coutRowPtr to next row
v_cmp_lt_u32 s[56:57], v0, s[sgprSizeI]            // coord0 < size0
v_cmp_lt_u32 s[60:61], v1, s[sgprSizeJ]            // coord1 < size1
s_and_b64 s[60:61], s[56:57], s[60:61]             // in0 && in1
_v_add_lshl_u32 v6, v2, v0, 0x3                    // scaleToBpe: accumulate d0 lower and *= bpe into Cin addr
v_cndmask_b32 v6, -1, v6, s[60:61]                 // LDC clip if OOB. offset
_buffer_load_b64 v[8:9], v6, s[sgprSrdC:sgprSrdC+3], 0, offen offset:0,  nt // load C for beta calc
_v_add_lshl_u32 v6, v3, v0, 0x3                    // scaleToBpe: accumulate d0 lower and *= bpe into Cin addr
v_cndmask_b32 v6, -1, v6, s[60:61]                 // LDD clip if OOB. offset
/* (d1,vc1,d0,vc0)=(1,0,0,1) */
_v_add_co_u32 v4, vcc, v0, 1                       // coord0.1: coord0 += d0*sg0*VW + vc0
v_cmp_lt_u32 s[56:57], v4, s[sgprSizeI]            // coord0 < size0
v_cmp_lt_u32 s[60:61], v1, s[sgprSizeJ]            // coord1 < size1
s_and_b64 s[60:61], s[56:57], s[60:61]             // in0 && in1
_v_add_lshl_u32 v7, v2, v4, 0x3                    // scaleToBpe: accumulate d0 lower and *= bpe into Cin addr
v_cndmask_b32 v7, -1, v7, s[60:61]                 // LDC clip if OOB. offset
_buffer_load_b64 v[12:13], v7, s[sgprSrdC:sgprSrdC+3], 0, offen offset:0,  nt // load C for beta calc
_v_add_lshl_u32 v7, v3, v4, 0x3                    // scaleToBpe: accumulate d0 lower and *= bpe into Cin addr
v_cndmask_b32 v7, -1, v7, s[60:61]                 // LDD clip if OOB. offset
/* (d1,vc1,d0,vc0)=(1,0,1,0) */
s_mov_b32 s56, 128                                 // coordOffset0 d0=1 vc0=0
_v_add_co_u32 v4, vcc, v0, s56                     // coord0.2: coord0 += d0*sg0*VW + vc0
v_cmp_lt_u32 s[56:57], v4, s[sgprSizeI]            // coord0 < size0
v_cmp_lt_u32 s[60:61], v1, s[sgprSizeJ]            // coord1 < size1
s_and_b64 s[60:61], s[56:57], s[60:61]             // in0 && in1
_v_add_lshl_u32 v16, v2, v4, 0x3                   // scaleToBpe: accumulate d0 lower and *= bpe into Cin addr
v_cndmask_b32 v16, -1, v16, s[60:61]               // LDC clip if OOB. offset
_buffer_load_b64 v[18:19], v16, s[sgprSrdC:sgprSrdC+3], 0, offen offset:0,  nt // load C for beta calc
_v_add_lshl_u32 v16, v3, v4, 0x3                   // scaleToBpe: accumulate d0 lower and *= bpe into Cin addr
v_cndmask_b32 v16, -1, v16, s[60:61]               // LDD clip if OOB. offset
/* (d1,vc1,d0,vc0)=(1,0,1,1) */
s_mov_b32 s56, 129                                 // coordOffset0 d0=1 vc0=1
_v_add_co_u32 v4, vcc, v0, s56                     // coord0.2: coord0 += d0*sg0*VW + vc0
v_cmp_lt_u32 s[56:57], v4, s[sgprSizeI]            // coord0 < size0
v_cmp_lt_u32 s[60:61], v1, s[sgprSizeJ]            // coord1 < size1
s_and_b64 s[60:61], s[56:57], s[60:61]             // in0 && in1
_v_add_lshl_u32 v17, v2, v4, 0x3                   // scaleToBpe: accumulate d0 lower and *= bpe into Cin addr
v_cndmask_b32 v17, -1, v17, s[60:61]               // LDC clip if OOB. offset
_buffer_load_b64 v[22:23], v17, s[sgprSrdC:sgprSrdC+3], 0, offen offset:0,  nt // load C for beta calc
_v_add_lshl_u32 v17, v3, v4, 0x3                   // scaleToBpe: accumulate d0 lower and *= bpe into Cin addr
v_cndmask_b32 v17, -1, v17, s[60:61]               // LDD clip if OOB. offset
s_sleep 3 // optimization: sync and wait
s_barrier
v_accvgpr_read_b32 v[vgprValuC+10], acc16 // copy acc to vreg[32]
v_accvgpr_read_b32 v[vgprValuC+11], acc128 // copy acc to vreg[33]
v_accvgpr_read_b32 v[vgprValuC+14], acc20 // copy acc to vreg[34]
v_accvgpr_read_b32 v[vgprValuC+15], acc132 // copy acc to vreg[35]
v_accvgpr_read_b32 v[vgprValuC+20], acc24 // copy acc to vreg[36]
v_accvgpr_read_b32 v[vgprValuC+21], acc136 // copy acc to vreg[37]
v_accvgpr_read_b32 v[vgprValuC+24], acc28 // copy acc to vreg[38]
v_accvgpr_read_b32 v[vgprValuC+25], acc140 // copy acc to vreg[39]
s_nop 1                                            // 2 wait states required before reading vgpr

/* rC *= alpha batchElements=[(1, 0, 0, 0), (1, 0, 0, 1), (1, 1, 0, 0), (1, 1, 0, 1)] */
v_mov_b32 v26, v[vgprValuC+10]                     // store Cr
v_mul_f32 v[vgprValuC+10], s[sgprAlpha], v[vgprValuC+10] // *= alpha ( Cr = Ar * Cr)
_v_mac_f32 v[vgprValuC+10], -s[sgprAlpha+1], v[vgprValuC+11] // *= alpha ( Cr += -Ai * Ci )
v_mul_f32 v[vgprValuC+11], s[sgprAlpha], v[vgprValuC+11] // *= alpha ( Ci = Ar * Ci)
_v_mac_f32 v[vgprValuC+11], s[sgprAlpha+1], v26    // *= alpha ( Ci += Ai * Cr_backup )
v_mov_b32 v26, v[vgprValuC+14]                     // store Cr
v_mul_f32 v[vgprValuC+14], s[sgprAlpha], v[vgprValuC+14] // *= alpha ( Cr = Ar * Cr)
_v_mac_f32 v[vgprValuC+14], -s[sgprAlpha+1], v[vgprValuC+15] // *= alpha ( Cr += -Ai * Ci )
v_mul_f32 v[vgprValuC+15], s[sgprAlpha], v[vgprValuC+15] // *= alpha ( Ci = Ar * Ci)
_v_mac_f32 v[vgprValuC+15], s[sgprAlpha+1], v26    // *= alpha ( Ci += Ai * Cr_backup )
	;; [unrolled: 5-line block ×4, first 2 shown]
s_waitcnt vmcnt(0)                                 // wait C

/* apply mask, calc new C and issue writes */
_v_mac_f32 v[vgprValuC+10], v8, s[sgprBeta]        // finalSum Cr += old Cr * Br
_v_mac_f32 v[vgprValuC+10], v9, -s[sgprBeta+1]     // finalSum Cr += old Ci * -Bi
_v_mac_f32 v[vgprValuC+11], v9, s[sgprBeta]        // finalSum Ci += old Ci * Br
_v_mac_f32 v[vgprValuC+11], v8, s[sgprBeta+1]      // finalSum Ci += old Cr * Bi
_buffer_store_b64 v[10:11], v6, s[sgprSrdD:sgprSrdD+3], 0, offen, offset:0,  nt // store D
_v_mac_f32 v[vgprValuC+14], v12, s[sgprBeta]       // finalSum Cr += old Cr * Br
_v_mac_f32 v[vgprValuC+14], v13, -s[sgprBeta+1]    // finalSum Cr += old Ci * -Bi
_v_mac_f32 v[vgprValuC+15], v13, s[sgprBeta]       // finalSum Ci += old Ci * Br
_v_mac_f32 v[vgprValuC+15], v12, s[sgprBeta+1]     // finalSum Ci += old Cr * Bi
_buffer_store_b64 v[14:15], v7, s[sgprSrdD:sgprSrdD+3], 0, offen, offset:0,  nt // store D
_v_mac_f32 v[vgprValuC+20], v18, s[sgprBeta]       // finalSum Cr += old Cr * Br
_v_mac_f32 v[vgprValuC+20], v19, -s[sgprBeta+1]    // finalSum Cr += old Ci * -Bi
_v_mac_f32 v[vgprValuC+21], v19, s[sgprBeta]       // finalSum Ci += old Ci * Br
_v_mac_f32 v[vgprValuC+21], v18, s[sgprBeta+1]     // finalSum Ci += old Cr * Bi
	;; [unrolled: 5-line block ×3, first 2 shown]
_buffer_store_b64 v[24:25], v17, s[sgprSrdD:sgprSrdD+3], 0, offen, offset:0,  nt // store D
s_nop 0                                            // 1 wait state required when next inst writes vgprs held by previous dwordx4 store inst
/* optSingleColVgpr=0 optSharedColVgpr=0 optSGPRUsage=BufferLoad_Edge_Mask optSrdIncForRow=0 */
s_sleep 3 // optimization: sync and wait
s_barrier

/******************************************/
/* Global Write Alpha Beta Edge Batch #5 (d1,d0,vc1,vc0) = */
/*    (1,0,1,0:vw1); (1,0,1,1:vw1); (1,1,1,0:vw1); (1,1,1,1:vw1) */
/******************************************/

/* calc coords, apply mask, and issue loads (if necessary) */
/* (d1,vc1,d0,vc0)=(1,1,0,0) */
_v_add_co_u32 v1, vcc, v1, 1                       // coord1.1: coord1Vgpr += d1*sg1*VW + vc1

/* Fix for UseInitialStridesCD, emitAddressSetupCode */
_v_add_u32 v2, v2, s[sgprStrideC1J]                // ROWINC- Move cinRowPtr to next row
_v_add_u32 v3, v3, s[sgprStrideD1J]                // Move coutRowPtr to next row
v_cmp_lt_u32 s[56:57], v0, s[sgprSizeI]            // coord0 < size0
v_cmp_lt_u32 s[60:61], v1, s[sgprSizeJ]            // coord1 < size1
s_and_b64 s[60:61], s[56:57], s[60:61]             // in0 && in1
_v_add_lshl_u32 v6, v2, v0, 0x3                    // scaleToBpe: accumulate d0 lower and *= bpe into Cin addr
v_cndmask_b32 v6, -1, v6, s[60:61]                 // LDC clip if OOB. offset
_buffer_load_b64 v[8:9], v6, s[sgprSrdC:sgprSrdC+3], 0, offen offset:0,  nt // load C for beta calc
_v_add_lshl_u32 v6, v3, v0, 0x3                    // scaleToBpe: accumulate d0 lower and *= bpe into Cin addr
v_cndmask_b32 v6, -1, v6, s[60:61]                 // LDD clip if OOB. offset
/* (d1,vc1,d0,vc0)=(1,1,0,1) */
_v_add_co_u32 v4, vcc, v0, 1                       // coord0.1: coord0 += d0*sg0*VW + vc0
v_cmp_lt_u32 s[56:57], v4, s[sgprSizeI]            // coord0 < size0
v_cmp_lt_u32 s[60:61], v1, s[sgprSizeJ]            // coord1 < size1
s_and_b64 s[60:61], s[56:57], s[60:61]             // in0 && in1
_v_add_lshl_u32 v7, v2, v4, 0x3                    // scaleToBpe: accumulate d0 lower and *= bpe into Cin addr
v_cndmask_b32 v7, -1, v7, s[60:61]                 // LDC clip if OOB. offset
_buffer_load_b64 v[12:13], v7, s[sgprSrdC:sgprSrdC+3], 0, offen offset:0,  nt // load C for beta calc
_v_add_lshl_u32 v7, v3, v4, 0x3                    // scaleToBpe: accumulate d0 lower and *= bpe into Cin addr
v_cndmask_b32 v7, -1, v7, s[60:61]                 // LDD clip if OOB. offset
/* (d1,vc1,d0,vc0)=(1,1,1,0) */
s_mov_b32 s56, 128                                 // coordOffset0 d0=1 vc0=0
_v_add_co_u32 v4, vcc, v0, s56                     // coord0.2: coord0 += d0*sg0*VW + vc0
v_cmp_lt_u32 s[56:57], v4, s[sgprSizeI]            // coord0 < size0
v_cmp_lt_u32 s[60:61], v1, s[sgprSizeJ]            // coord1 < size1
s_and_b64 s[60:61], s[56:57], s[60:61]             // in0 && in1
_v_add_lshl_u32 v16, v2, v4, 0x3                   // scaleToBpe: accumulate d0 lower and *= bpe into Cin addr
v_cndmask_b32 v16, -1, v16, s[60:61]               // LDC clip if OOB. offset
_buffer_load_b64 v[18:19], v16, s[sgprSrdC:sgprSrdC+3], 0, offen offset:0,  nt // load C for beta calc
_v_add_lshl_u32 v16, v3, v4, 0x3                   // scaleToBpe: accumulate d0 lower and *= bpe into Cin addr
v_cndmask_b32 v16, -1, v16, s[60:61]               // LDD clip if OOB. offset
/* (d1,vc1,d0,vc0)=(1,1,1,1) */
s_mov_b32 s56, 129                                 // coordOffset0 d0=1 vc0=1
_v_add_co_u32 v4, vcc, v0, s56                     // coord0.2: coord0 += d0*sg0*VW + vc0
v_cmp_lt_u32 s[56:57], v4, s[sgprSizeI]            // coord0 < size0
v_cmp_lt_u32 s[60:61], v1, s[sgprSizeJ]            // coord1 < size1
s_and_b64 s[60:61], s[56:57], s[60:61]             // in0 && in1
_v_add_lshl_u32 v17, v2, v4, 0x3                   // scaleToBpe: accumulate d0 lower and *= bpe into Cin addr
v_cndmask_b32 v17, -1, v17, s[60:61]               // LDC clip if OOB. offset
_buffer_load_b64 v[22:23], v17, s[sgprSrdC:sgprSrdC+3], 0, offen offset:0,  nt // load C for beta calc
_v_add_lshl_u32 v17, v3, v4, 0x3                   // scaleToBpe: accumulate d0 lower and *= bpe into Cin addr
v_cndmask_b32 v17, -1, v17, s[60:61]               // LDD clip if OOB. offset
s_sleep 3 // optimization: sync and wait
s_barrier
v_accvgpr_read_b32 v[vgprValuC+10], acc17 // copy acc to vreg[40]
v_accvgpr_read_b32 v[vgprValuC+11], acc129 // copy acc to vreg[41]
v_accvgpr_read_b32 v[vgprValuC+14], acc21 // copy acc to vreg[42]
v_accvgpr_read_b32 v[vgprValuC+15], acc133 // copy acc to vreg[43]
v_accvgpr_read_b32 v[vgprValuC+20], acc25 // copy acc to vreg[44]
v_accvgpr_read_b32 v[vgprValuC+21], acc137 // copy acc to vreg[45]
v_accvgpr_read_b32 v[vgprValuC+24], acc29 // copy acc to vreg[46]
v_accvgpr_read_b32 v[vgprValuC+25], acc141 // copy acc to vreg[47]
s_nop 1                                            // 2 wait states required before reading vgpr

/* rC *= alpha batchElements=[(1, 0, 1, 0), (1, 0, 1, 1), (1, 1, 1, 0), (1, 1, 1, 1)] */
v_mov_b32 v26, v[vgprValuC+10]                     // store Cr
v_mul_f32 v[vgprValuC+10], s[sgprAlpha], v[vgprValuC+10] // *= alpha ( Cr = Ar * Cr)
_v_mac_f32 v[vgprValuC+10], -s[sgprAlpha+1], v[vgprValuC+11] // *= alpha ( Cr += -Ai * Ci )
v_mul_f32 v[vgprValuC+11], s[sgprAlpha], v[vgprValuC+11] // *= alpha ( Ci = Ar * Ci)
_v_mac_f32 v[vgprValuC+11], s[sgprAlpha+1], v26    // *= alpha ( Ci += Ai * Cr_backup )
v_mov_b32 v26, v[vgprValuC+14]                     // store Cr
v_mul_f32 v[vgprValuC+14], s[sgprAlpha], v[vgprValuC+14] // *= alpha ( Cr = Ar * Cr)
_v_mac_f32 v[vgprValuC+14], -s[sgprAlpha+1], v[vgprValuC+15] // *= alpha ( Cr += -Ai * Ci )
v_mul_f32 v[vgprValuC+15], s[sgprAlpha], v[vgprValuC+15] // *= alpha ( Ci = Ar * Ci)
_v_mac_f32 v[vgprValuC+15], s[sgprAlpha+1], v26    // *= alpha ( Ci += Ai * Cr_backup )
	;; [unrolled: 5-line block ×4, first 2 shown]
s_waitcnt vmcnt(0)                                 // wait C

/* apply mask, calc new C and issue writes */
_v_mac_f32 v[vgprValuC+10], v8, s[sgprBeta]        // finalSum Cr += old Cr * Br
_v_mac_f32 v[vgprValuC+10], v9, -s[sgprBeta+1]     // finalSum Cr += old Ci * -Bi
_v_mac_f32 v[vgprValuC+11], v9, s[sgprBeta]        // finalSum Ci += old Ci * Br
_v_mac_f32 v[vgprValuC+11], v8, s[sgprBeta+1]      // finalSum Ci += old Cr * Bi
_buffer_store_b64 v[10:11], v6, s[sgprSrdD:sgprSrdD+3], 0, offen, offset:0,  nt // store D
_v_mac_f32 v[vgprValuC+14], v12, s[sgprBeta]       // finalSum Cr += old Cr * Br
_v_mac_f32 v[vgprValuC+14], v13, -s[sgprBeta+1]    // finalSum Cr += old Ci * -Bi
_v_mac_f32 v[vgprValuC+15], v13, s[sgprBeta]       // finalSum Ci += old Ci * Br
_v_mac_f32 v[vgprValuC+15], v12, s[sgprBeta+1]     // finalSum Ci += old Cr * Bi
_buffer_store_b64 v[14:15], v7, s[sgprSrdD:sgprSrdD+3], 0, offen, offset:0,  nt // store D
_v_mac_f32 v[vgprValuC+20], v18, s[sgprBeta]       // finalSum Cr += old Cr * Br
_v_mac_f32 v[vgprValuC+20], v19, -s[sgprBeta+1]    // finalSum Cr += old Ci * -Bi
_v_mac_f32 v[vgprValuC+21], v19, s[sgprBeta]       // finalSum Ci += old Ci * Br
_v_mac_f32 v[vgprValuC+21], v18, s[sgprBeta+1]     // finalSum Ci += old Cr * Bi
	;; [unrolled: 5-line block ×3, first 2 shown]
_buffer_store_b64 v[24:25], v17, s[sgprSrdD:sgprSrdD+3], 0, offen, offset:0,  nt // store D
s_nop 0                                            // 1 wait state required when next inst writes vgprs held by previous dwordx4 store inst
/* optSingleColVgpr=0 optSharedColVgpr=0 optSGPRUsage=BufferLoad_Edge_Mask optSrdIncForRow=0 */
s_sleep 3 // optimization: sync and wait
s_barrier

/******************************************/
/* Global Write Alpha Beta Edge Batch #6 (d1,d0,vc1,vc0) = */
/*    (1,0,2,0:vw1); (1,0,2,1:vw1); (1,1,2,0:vw1); (1,1,2,1:vw1) */
/******************************************/

/* calc coords, apply mask, and issue loads (if necessary) */
/* (d1,vc1,d0,vc0)=(1,2,0,0) */
_v_add_co_u32 v1, vcc, v1, 1                       // coord1.1: coord1Vgpr += d1*sg1*VW + vc1

/* Fix for UseInitialStridesCD, emitAddressSetupCode */
_v_add_u32 v2, v2, s[sgprStrideC1J]                // ROWINC- Move cinRowPtr to next row
_v_add_u32 v3, v3, s[sgprStrideD1J]                // Move coutRowPtr to next row
v_cmp_lt_u32 s[56:57], v0, s[sgprSizeI]            // coord0 < size0
v_cmp_lt_u32 s[60:61], v1, s[sgprSizeJ]            // coord1 < size1
s_and_b64 s[60:61], s[56:57], s[60:61]             // in0 && in1
_v_add_lshl_u32 v6, v2, v0, 0x3                    // scaleToBpe: accumulate d0 lower and *= bpe into Cin addr
v_cndmask_b32 v6, -1, v6, s[60:61]                 // LDC clip if OOB. offset
_buffer_load_b64 v[8:9], v6, s[sgprSrdC:sgprSrdC+3], 0, offen offset:0,  nt // load C for beta calc
_v_add_lshl_u32 v6, v3, v0, 0x3                    // scaleToBpe: accumulate d0 lower and *= bpe into Cin addr
v_cndmask_b32 v6, -1, v6, s[60:61]                 // LDD clip if OOB. offset
/* (d1,vc1,d0,vc0)=(1,2,0,1) */
_v_add_co_u32 v4, vcc, v0, 1                       // coord0.1: coord0 += d0*sg0*VW + vc0
v_cmp_lt_u32 s[56:57], v4, s[sgprSizeI]            // coord0 < size0
v_cmp_lt_u32 s[60:61], v1, s[sgprSizeJ]            // coord1 < size1
s_and_b64 s[60:61], s[56:57], s[60:61]             // in0 && in1
_v_add_lshl_u32 v7, v2, v4, 0x3                    // scaleToBpe: accumulate d0 lower and *= bpe into Cin addr
v_cndmask_b32 v7, -1, v7, s[60:61]                 // LDC clip if OOB. offset
_buffer_load_b64 v[12:13], v7, s[sgprSrdC:sgprSrdC+3], 0, offen offset:0,  nt // load C for beta calc
_v_add_lshl_u32 v7, v3, v4, 0x3                    // scaleToBpe: accumulate d0 lower and *= bpe into Cin addr
v_cndmask_b32 v7, -1, v7, s[60:61]                 // LDD clip if OOB. offset
/* (d1,vc1,d0,vc0)=(1,2,1,0) */
s_mov_b32 s56, 128                                 // coordOffset0 d0=1 vc0=0
_v_add_co_u32 v4, vcc, v0, s56                     // coord0.2: coord0 += d0*sg0*VW + vc0
v_cmp_lt_u32 s[56:57], v4, s[sgprSizeI]            // coord0 < size0
v_cmp_lt_u32 s[60:61], v1, s[sgprSizeJ]            // coord1 < size1
s_and_b64 s[60:61], s[56:57], s[60:61]             // in0 && in1
_v_add_lshl_u32 v16, v2, v4, 0x3                   // scaleToBpe: accumulate d0 lower and *= bpe into Cin addr
v_cndmask_b32 v16, -1, v16, s[60:61]               // LDC clip if OOB. offset
_buffer_load_b64 v[18:19], v16, s[sgprSrdC:sgprSrdC+3], 0, offen offset:0,  nt // load C for beta calc
_v_add_lshl_u32 v16, v3, v4, 0x3                   // scaleToBpe: accumulate d0 lower and *= bpe into Cin addr
v_cndmask_b32 v16, -1, v16, s[60:61]               // LDD clip if OOB. offset
/* (d1,vc1,d0,vc0)=(1,2,1,1) */
s_mov_b32 s56, 129                                 // coordOffset0 d0=1 vc0=1
_v_add_co_u32 v4, vcc, v0, s56                     // coord0.2: coord0 += d0*sg0*VW + vc0
v_cmp_lt_u32 s[56:57], v4, s[sgprSizeI]            // coord0 < size0
v_cmp_lt_u32 s[60:61], v1, s[sgprSizeJ]            // coord1 < size1
s_and_b64 s[60:61], s[56:57], s[60:61]             // in0 && in1
_v_add_lshl_u32 v17, v2, v4, 0x3                   // scaleToBpe: accumulate d0 lower and *= bpe into Cin addr
v_cndmask_b32 v17, -1, v17, s[60:61]               // LDC clip if OOB. offset
_buffer_load_b64 v[22:23], v17, s[sgprSrdC:sgprSrdC+3], 0, offen offset:0,  nt // load C for beta calc
_v_add_lshl_u32 v17, v3, v4, 0x3                   // scaleToBpe: accumulate d0 lower and *= bpe into Cin addr
v_cndmask_b32 v17, -1, v17, s[60:61]               // LDD clip if OOB. offset
s_sleep 3 // optimization: sync and wait
s_barrier
v_accvgpr_read_b32 v[vgprValuC+10], acc18 // copy acc to vreg[48]
v_accvgpr_read_b32 v[vgprValuC+11], acc130 // copy acc to vreg[49]
v_accvgpr_read_b32 v[vgprValuC+14], acc22 // copy acc to vreg[50]
v_accvgpr_read_b32 v[vgprValuC+15], acc134 // copy acc to vreg[51]
v_accvgpr_read_b32 v[vgprValuC+20], acc26 // copy acc to vreg[52]
v_accvgpr_read_b32 v[vgprValuC+21], acc138 // copy acc to vreg[53]
v_accvgpr_read_b32 v[vgprValuC+24], acc30 // copy acc to vreg[54]
v_accvgpr_read_b32 v[vgprValuC+25], acc142 // copy acc to vreg[55]
s_nop 1                                            // 2 wait states required before reading vgpr

/* rC *= alpha batchElements=[(1, 0, 2, 0), (1, 0, 2, 1), (1, 1, 2, 0), (1, 1, 2, 1)] */
v_mov_b32 v26, v[vgprValuC+10]                     // store Cr
v_mul_f32 v[vgprValuC+10], s[sgprAlpha], v[vgprValuC+10] // *= alpha ( Cr = Ar * Cr)
_v_mac_f32 v[vgprValuC+10], -s[sgprAlpha+1], v[vgprValuC+11] // *= alpha ( Cr += -Ai * Ci )
v_mul_f32 v[vgprValuC+11], s[sgprAlpha], v[vgprValuC+11] // *= alpha ( Ci = Ar * Ci)
_v_mac_f32 v[vgprValuC+11], s[sgprAlpha+1], v26    // *= alpha ( Ci += Ai * Cr_backup )
v_mov_b32 v26, v[vgprValuC+14]                     // store Cr
v_mul_f32 v[vgprValuC+14], s[sgprAlpha], v[vgprValuC+14] // *= alpha ( Cr = Ar * Cr)
_v_mac_f32 v[vgprValuC+14], -s[sgprAlpha+1], v[vgprValuC+15] // *= alpha ( Cr += -Ai * Ci )
v_mul_f32 v[vgprValuC+15], s[sgprAlpha], v[vgprValuC+15] // *= alpha ( Ci = Ar * Ci)
_v_mac_f32 v[vgprValuC+15], s[sgprAlpha+1], v26    // *= alpha ( Ci += Ai * Cr_backup )
	;; [unrolled: 5-line block ×4, first 2 shown]
s_waitcnt vmcnt(0)                                 // wait C

/* apply mask, calc new C and issue writes */
_v_mac_f32 v[vgprValuC+10], v8, s[sgprBeta]        // finalSum Cr += old Cr * Br
_v_mac_f32 v[vgprValuC+10], v9, -s[sgprBeta+1]     // finalSum Cr += old Ci * -Bi
_v_mac_f32 v[vgprValuC+11], v9, s[sgprBeta]        // finalSum Ci += old Ci * Br
_v_mac_f32 v[vgprValuC+11], v8, s[sgprBeta+1]      // finalSum Ci += old Cr * Bi
_buffer_store_b64 v[10:11], v6, s[sgprSrdD:sgprSrdD+3], 0, offen, offset:0,  nt // store D
_v_mac_f32 v[vgprValuC+14], v12, s[sgprBeta]       // finalSum Cr += old Cr * Br
_v_mac_f32 v[vgprValuC+14], v13, -s[sgprBeta+1]    // finalSum Cr += old Ci * -Bi
_v_mac_f32 v[vgprValuC+15], v13, s[sgprBeta]       // finalSum Ci += old Ci * Br
_v_mac_f32 v[vgprValuC+15], v12, s[sgprBeta+1]     // finalSum Ci += old Cr * Bi
_buffer_store_b64 v[14:15], v7, s[sgprSrdD:sgprSrdD+3], 0, offen, offset:0,  nt // store D
_v_mac_f32 v[vgprValuC+20], v18, s[sgprBeta]       // finalSum Cr += old Cr * Br
_v_mac_f32 v[vgprValuC+20], v19, -s[sgprBeta+1]    // finalSum Cr += old Ci * -Bi
_v_mac_f32 v[vgprValuC+21], v19, s[sgprBeta]       // finalSum Ci += old Ci * Br
_v_mac_f32 v[vgprValuC+21], v18, s[sgprBeta+1]     // finalSum Ci += old Cr * Bi
	;; [unrolled: 5-line block ×3, first 2 shown]
_buffer_store_b64 v[24:25], v17, s[sgprSrdD:sgprSrdD+3], 0, offen, offset:0,  nt // store D
s_nop 0                                            // 1 wait state required when next inst writes vgprs held by previous dwordx4 store inst
/* optSingleColVgpr=0 optSharedColVgpr=0 optSGPRUsage=BufferLoad_Edge_Mask optSrdIncForRow=0 */
s_sleep 3 // optimization: sync and wait
s_barrier

/******************************************/
/* Global Write Alpha Beta Edge Batch #7 (d1,d0,vc1,vc0) = */
/*    (1,0,3,0:vw1); (1,0,3,1:vw1); (1,1,3,0:vw1); (1,1,3,1:vw1) */
/******************************************/

/* calc coords, apply mask, and issue loads (if necessary) */
/* (d1,vc1,d0,vc0)=(1,3,0,0) */
_v_add_co_u32 v1, vcc, v1, 1                       // coord1.1: coord1Vgpr += d1*sg1*VW + vc1

/* Fix for UseInitialStridesCD, emitAddressSetupCode */
_v_add_u32 v2, v2, s[sgprStrideC1J]                // ROWINC- Move cinRowPtr to next row
_v_add_u32 v3, v3, s[sgprStrideD1J]                // Move coutRowPtr to next row
v_cmp_lt_u32 s[56:57], v0, s[sgprSizeI]            // coord0 < size0
v_cmp_lt_u32 s[60:61], v1, s[sgprSizeJ]            // coord1 < size1
s_and_b64 s[60:61], s[56:57], s[60:61]             // in0 && in1
_v_add_lshl_u32 v6, v2, v0, 0x3                    // scaleToBpe: accumulate d0 lower and *= bpe into Cin addr
v_cndmask_b32 v6, -1, v6, s[60:61]                 // LDC clip if OOB. offset
_buffer_load_b64 v[8:9], v6, s[sgprSrdC:sgprSrdC+3], 0, offen offset:0,  nt // load C for beta calc
_v_add_lshl_u32 v6, v3, v0, 0x3                    // scaleToBpe: accumulate d0 lower and *= bpe into Cin addr
v_cndmask_b32 v6, -1, v6, s[60:61]                 // LDD clip if OOB. offset
/* (d1,vc1,d0,vc0)=(1,3,0,1) */
_v_add_co_u32 v4, vcc, v0, 1                       // coord0.1: coord0 += d0*sg0*VW + vc0
v_cmp_lt_u32 s[56:57], v4, s[sgprSizeI]            // coord0 < size0
v_cmp_lt_u32 s[60:61], v1, s[sgprSizeJ]            // coord1 < size1
s_and_b64 s[60:61], s[56:57], s[60:61]             // in0 && in1
_v_add_lshl_u32 v7, v2, v4, 0x3                    // scaleToBpe: accumulate d0 lower and *= bpe into Cin addr
v_cndmask_b32 v7, -1, v7, s[60:61]                 // LDC clip if OOB. offset
_buffer_load_b64 v[12:13], v7, s[sgprSrdC:sgprSrdC+3], 0, offen offset:0,  nt // load C for beta calc
_v_add_lshl_u32 v7, v3, v4, 0x3                    // scaleToBpe: accumulate d0 lower and *= bpe into Cin addr
v_cndmask_b32 v7, -1, v7, s[60:61]                 // LDD clip if OOB. offset
/* (d1,vc1,d0,vc0)=(1,3,1,0) */
s_mov_b32 s56, 128                                 // coordOffset0 d0=1 vc0=0
_v_add_co_u32 v4, vcc, v0, s56                     // coord0.2: coord0 += d0*sg0*VW + vc0
v_cmp_lt_u32 s[56:57], v4, s[sgprSizeI]            // coord0 < size0
v_cmp_lt_u32 s[60:61], v1, s[sgprSizeJ]            // coord1 < size1
s_and_b64 s[60:61], s[56:57], s[60:61]             // in0 && in1
_v_add_lshl_u32 v16, v2, v4, 0x3                   // scaleToBpe: accumulate d0 lower and *= bpe into Cin addr
v_cndmask_b32 v16, -1, v16, s[60:61]               // LDC clip if OOB. offset
_buffer_load_b64 v[18:19], v16, s[sgprSrdC:sgprSrdC+3], 0, offen offset:0,  nt // load C for beta calc
_v_add_lshl_u32 v16, v3, v4, 0x3                   // scaleToBpe: accumulate d0 lower and *= bpe into Cin addr
v_cndmask_b32 v16, -1, v16, s[60:61]               // LDD clip if OOB. offset
/* (d1,vc1,d0,vc0)=(1,3,1,1) */
s_mov_b32 s56, 129                                 // coordOffset0 d0=1 vc0=1
_v_add_co_u32 v4, vcc, v0, s56                     // coord0.2: coord0 += d0*sg0*VW + vc0
v_cmp_lt_u32 s[56:57], v4, s[sgprSizeI]            // coord0 < size0
v_cmp_lt_u32 s[60:61], v1, s[sgprSizeJ]            // coord1 < size1
s_and_b64 s[60:61], s[56:57], s[60:61]             // in0 && in1
_v_add_lshl_u32 v17, v2, v4, 0x3                   // scaleToBpe: accumulate d0 lower and *= bpe into Cin addr
v_cndmask_b32 v17, -1, v17, s[60:61]               // LDC clip if OOB. offset
_buffer_load_b64 v[22:23], v17, s[sgprSrdC:sgprSrdC+3], 0, offen offset:0,  nt // load C for beta calc
_v_add_lshl_u32 v17, v3, v4, 0x3                   // scaleToBpe: accumulate d0 lower and *= bpe into Cin addr
v_cndmask_b32 v17, -1, v17, s[60:61]               // LDD clip if OOB. offset
s_sleep 3 // optimization: sync and wait
s_barrier
v_accvgpr_read_b32 v[vgprValuC+10], acc19 // copy acc to vreg[56]
v_accvgpr_read_b32 v[vgprValuC+11], acc131 // copy acc to vreg[57]
v_accvgpr_read_b32 v[vgprValuC+14], acc23 // copy acc to vreg[58]
v_accvgpr_read_b32 v[vgprValuC+15], acc135 // copy acc to vreg[59]
v_accvgpr_read_b32 v[vgprValuC+20], acc27 // copy acc to vreg[60]
v_accvgpr_read_b32 v[vgprValuC+21], acc139 // copy acc to vreg[61]
v_accvgpr_read_b32 v[vgprValuC+24], acc31 // copy acc to vreg[62]
v_accvgpr_read_b32 v[vgprValuC+25], acc143 // copy acc to vreg[63]
s_nop 1                                            // 2 wait states required before reading vgpr

/* rC *= alpha batchElements=[(1, 0, 3, 0), (1, 0, 3, 1), (1, 1, 3, 0), (1, 1, 3, 1)] */
v_mov_b32 v26, v[vgprValuC+10]                     // store Cr
v_mul_f32 v[vgprValuC+10], s[sgprAlpha], v[vgprValuC+10] // *= alpha ( Cr = Ar * Cr)
_v_mac_f32 v[vgprValuC+10], -s[sgprAlpha+1], v[vgprValuC+11] // *= alpha ( Cr += -Ai * Ci )
v_mul_f32 v[vgprValuC+11], s[sgprAlpha], v[vgprValuC+11] // *= alpha ( Ci = Ar * Ci)
_v_mac_f32 v[vgprValuC+11], s[sgprAlpha+1], v26    // *= alpha ( Ci += Ai * Cr_backup )
v_mov_b32 v26, v[vgprValuC+14]                     // store Cr
v_mul_f32 v[vgprValuC+14], s[sgprAlpha], v[vgprValuC+14] // *= alpha ( Cr = Ar * Cr)
_v_mac_f32 v[vgprValuC+14], -s[sgprAlpha+1], v[vgprValuC+15] // *= alpha ( Cr += -Ai * Ci )
v_mul_f32 v[vgprValuC+15], s[sgprAlpha], v[vgprValuC+15] // *= alpha ( Ci = Ar * Ci)
_v_mac_f32 v[vgprValuC+15], s[sgprAlpha+1], v26    // *= alpha ( Ci += Ai * Cr_backup )
	;; [unrolled: 5-line block ×4, first 2 shown]
s_waitcnt vmcnt(0)                                 // wait C

/* apply mask, calc new C and issue writes */
_v_mac_f32 v[vgprValuC+10], v8, s[sgprBeta]        // finalSum Cr += old Cr * Br
_v_mac_f32 v[vgprValuC+10], v9, -s[sgprBeta+1]     // finalSum Cr += old Ci * -Bi
_v_mac_f32 v[vgprValuC+11], v9, s[sgprBeta]        // finalSum Ci += old Ci * Br
_v_mac_f32 v[vgprValuC+11], v8, s[sgprBeta+1]      // finalSum Ci += old Cr * Bi
_buffer_store_b64 v[10:11], v6, s[sgprSrdD:sgprSrdD+3], 0, offen, offset:0,  nt // store D
_v_mac_f32 v[vgprValuC+14], v12, s[sgprBeta]       // finalSum Cr += old Cr * Br
_v_mac_f32 v[vgprValuC+14], v13, -s[sgprBeta+1]    // finalSum Cr += old Ci * -Bi
_v_mac_f32 v[vgprValuC+15], v13, s[sgprBeta]       // finalSum Ci += old Ci * Br
_v_mac_f32 v[vgprValuC+15], v12, s[sgprBeta+1]     // finalSum Ci += old Cr * Bi
_buffer_store_b64 v[14:15], v7, s[sgprSrdD:sgprSrdD+3], 0, offen, offset:0,  nt // store D
_v_mac_f32 v[vgprValuC+20], v18, s[sgprBeta]       // finalSum Cr += old Cr * Br
_v_mac_f32 v[vgprValuC+20], v19, -s[sgprBeta+1]    // finalSum Cr += old Ci * -Bi
_v_mac_f32 v[vgprValuC+21], v19, s[sgprBeta]       // finalSum Ci += old Ci * Br
_v_mac_f32 v[vgprValuC+21], v18, s[sgprBeta+1]     // finalSum Ci += old Cr * Bi
	;; [unrolled: 5-line block ×3, first 2 shown]
_buffer_store_b64 v[24:25], v17, s[sgprSrdD:sgprSrdD+3], 0, offen, offset:0,  nt // store D
s_nop 0                                            // 1 wait state required when next inst writes vgprs held by previous dwordx4 store inst
/* optSingleColVgpr=0 optSharedColVgpr=0 optSGPRUsage=BufferLoad_Edge_Mask optSrdIncForRow=0 */
s_sleep 3 // optimization: sync and wait
s_barrier

/******************************************/
/* Global Write Alpha Beta Edge Batch #8 (d1,d0,vc1,vc0) = */
/*    (2,0,0,0:vw1); (2,0,0,1:vw1); (2,1,0,0:vw1); (2,1,0,1:vw1) */
/******************************************/

/* calc coords, apply mask, and issue loads (if necessary) */
/* (d1,vc1,d0,vc0)=(2,0,0,0) */
_v_add_co_u32 v1, vcc, v1, 13                      // coord1.1: coord1Vgpr += d1*sg1*VW + vc1

/* Fix for UseInitialStridesCD, emitAddressSetupCode */
s_mul_i32 s56, s[sgprStrideC1J], 13                // scale stride
_v_add_u32 v2, v2, s56                             // ROWINC- Move cinRowPtr to next row
s_mul_i32 s56, s[sgprStrideD1J], 13                // scale stride
_v_add_u32 v3, v3, s56                             // Move coutRowPtr to next row
v_cmp_lt_u32 s[56:57], v0, s[sgprSizeI]            // coord0 < size0
v_cmp_lt_u32 s[60:61], v1, s[sgprSizeJ]            // coord1 < size1
s_and_b64 s[60:61], s[56:57], s[60:61]             // in0 && in1
_v_add_lshl_u32 v6, v2, v0, 0x3                    // scaleToBpe: accumulate d0 lower and *= bpe into Cin addr
v_cndmask_b32 v6, -1, v6, s[60:61]                 // LDC clip if OOB. offset
_buffer_load_b64 v[8:9], v6, s[sgprSrdC:sgprSrdC+3], 0, offen offset:0,  nt // load C for beta calc
_v_add_lshl_u32 v6, v3, v0, 0x3                    // scaleToBpe: accumulate d0 lower and *= bpe into Cin addr
v_cndmask_b32 v6, -1, v6, s[60:61]                 // LDD clip if OOB. offset
/* (d1,vc1,d0,vc0)=(2,0,0,1) */
_v_add_co_u32 v4, vcc, v0, 1                       // coord0.1: coord0 += d0*sg0*VW + vc0
v_cmp_lt_u32 s[56:57], v4, s[sgprSizeI]            // coord0 < size0
v_cmp_lt_u32 s[60:61], v1, s[sgprSizeJ]            // coord1 < size1
s_and_b64 s[60:61], s[56:57], s[60:61]             // in0 && in1
_v_add_lshl_u32 v7, v2, v4, 0x3                    // scaleToBpe: accumulate d0 lower and *= bpe into Cin addr
v_cndmask_b32 v7, -1, v7, s[60:61]                 // LDC clip if OOB. offset
_buffer_load_b64 v[12:13], v7, s[sgprSrdC:sgprSrdC+3], 0, offen offset:0,  nt // load C for beta calc
_v_add_lshl_u32 v7, v3, v4, 0x3                    // scaleToBpe: accumulate d0 lower and *= bpe into Cin addr
v_cndmask_b32 v7, -1, v7, s[60:61]                 // LDD clip if OOB. offset
/* (d1,vc1,d0,vc0)=(2,0,1,0) */
s_mov_b32 s56, 128                                 // coordOffset0 d0=1 vc0=0
_v_add_co_u32 v4, vcc, v0, s56                     // coord0.2: coord0 += d0*sg0*VW + vc0
v_cmp_lt_u32 s[56:57], v4, s[sgprSizeI]            // coord0 < size0
v_cmp_lt_u32 s[60:61], v1, s[sgprSizeJ]            // coord1 < size1
s_and_b64 s[60:61], s[56:57], s[60:61]             // in0 && in1
_v_add_lshl_u32 v16, v2, v4, 0x3                   // scaleToBpe: accumulate d0 lower and *= bpe into Cin addr
v_cndmask_b32 v16, -1, v16, s[60:61]               // LDC clip if OOB. offset
_buffer_load_b64 v[18:19], v16, s[sgprSrdC:sgprSrdC+3], 0, offen offset:0,  nt // load C for beta calc
_v_add_lshl_u32 v16, v3, v4, 0x3                   // scaleToBpe: accumulate d0 lower and *= bpe into Cin addr
v_cndmask_b32 v16, -1, v16, s[60:61]               // LDD clip if OOB. offset
/* (d1,vc1,d0,vc0)=(2,0,1,1) */
s_mov_b32 s56, 129                                 // coordOffset0 d0=1 vc0=1
_v_add_co_u32 v4, vcc, v0, s56                     // coord0.2: coord0 += d0*sg0*VW + vc0
v_cmp_lt_u32 s[56:57], v4, s[sgprSizeI]            // coord0 < size0
v_cmp_lt_u32 s[60:61], v1, s[sgprSizeJ]            // coord1 < size1
s_and_b64 s[60:61], s[56:57], s[60:61]             // in0 && in1
_v_add_lshl_u32 v17, v2, v4, 0x3                   // scaleToBpe: accumulate d0 lower and *= bpe into Cin addr
v_cndmask_b32 v17, -1, v17, s[60:61]               // LDC clip if OOB. offset
_buffer_load_b64 v[22:23], v17, s[sgprSrdC:sgprSrdC+3], 0, offen offset:0,  nt // load C for beta calc
_v_add_lshl_u32 v17, v3, v4, 0x3                   // scaleToBpe: accumulate d0 lower and *= bpe into Cin addr
v_cndmask_b32 v17, -1, v17, s[60:61]               // LDD clip if OOB. offset
s_sleep 3 // optimization: sync and wait
s_barrier
v_accvgpr_read_b32 v[vgprValuC+10], acc32 // copy acc to vreg[64]
v_accvgpr_read_b32 v[vgprValuC+11], acc144 // copy acc to vreg[65]
v_accvgpr_read_b32 v[vgprValuC+14], acc36 // copy acc to vreg[66]
v_accvgpr_read_b32 v[vgprValuC+15], acc148 // copy acc to vreg[67]
v_accvgpr_read_b32 v[vgprValuC+20], acc40 // copy acc to vreg[68]
v_accvgpr_read_b32 v[vgprValuC+21], acc152 // copy acc to vreg[69]
v_accvgpr_read_b32 v[vgprValuC+24], acc44 // copy acc to vreg[70]
v_accvgpr_read_b32 v[vgprValuC+25], acc156 // copy acc to vreg[71]
s_nop 1                                            // 2 wait states required before reading vgpr

/* rC *= alpha batchElements=[(2, 0, 0, 0), (2, 0, 0, 1), (2, 1, 0, 0), (2, 1, 0, 1)] */
v_mov_b32 v26, v[vgprValuC+10]                     // store Cr
v_mul_f32 v[vgprValuC+10], s[sgprAlpha], v[vgprValuC+10] // *= alpha ( Cr = Ar * Cr)
_v_mac_f32 v[vgprValuC+10], -s[sgprAlpha+1], v[vgprValuC+11] // *= alpha ( Cr += -Ai * Ci )
v_mul_f32 v[vgprValuC+11], s[sgprAlpha], v[vgprValuC+11] // *= alpha ( Ci = Ar * Ci)
_v_mac_f32 v[vgprValuC+11], s[sgprAlpha+1], v26    // *= alpha ( Ci += Ai * Cr_backup )
v_mov_b32 v26, v[vgprValuC+14]                     // store Cr
v_mul_f32 v[vgprValuC+14], s[sgprAlpha], v[vgprValuC+14] // *= alpha ( Cr = Ar * Cr)
_v_mac_f32 v[vgprValuC+14], -s[sgprAlpha+1], v[vgprValuC+15] // *= alpha ( Cr += -Ai * Ci )
v_mul_f32 v[vgprValuC+15], s[sgprAlpha], v[vgprValuC+15] // *= alpha ( Ci = Ar * Ci)
_v_mac_f32 v[vgprValuC+15], s[sgprAlpha+1], v26    // *= alpha ( Ci += Ai * Cr_backup )
	;; [unrolled: 5-line block ×4, first 2 shown]
s_waitcnt vmcnt(0)                                 // wait C

/* apply mask, calc new C and issue writes */
_v_mac_f32 v[vgprValuC+10], v8, s[sgprBeta]        // finalSum Cr += old Cr * Br
_v_mac_f32 v[vgprValuC+10], v9, -s[sgprBeta+1]     // finalSum Cr += old Ci * -Bi
_v_mac_f32 v[vgprValuC+11], v9, s[sgprBeta]        // finalSum Ci += old Ci * Br
_v_mac_f32 v[vgprValuC+11], v8, s[sgprBeta+1]      // finalSum Ci += old Cr * Bi
_buffer_store_b64 v[10:11], v6, s[sgprSrdD:sgprSrdD+3], 0, offen, offset:0,  nt // store D
_v_mac_f32 v[vgprValuC+14], v12, s[sgprBeta]       // finalSum Cr += old Cr * Br
_v_mac_f32 v[vgprValuC+14], v13, -s[sgprBeta+1]    // finalSum Cr += old Ci * -Bi
_v_mac_f32 v[vgprValuC+15], v13, s[sgprBeta]       // finalSum Ci += old Ci * Br
_v_mac_f32 v[vgprValuC+15], v12, s[sgprBeta+1]     // finalSum Ci += old Cr * Bi
_buffer_store_b64 v[14:15], v7, s[sgprSrdD:sgprSrdD+3], 0, offen, offset:0,  nt // store D
_v_mac_f32 v[vgprValuC+20], v18, s[sgprBeta]       // finalSum Cr += old Cr * Br
_v_mac_f32 v[vgprValuC+20], v19, -s[sgprBeta+1]    // finalSum Cr += old Ci * -Bi
_v_mac_f32 v[vgprValuC+21], v19, s[sgprBeta]       // finalSum Ci += old Ci * Br
_v_mac_f32 v[vgprValuC+21], v18, s[sgprBeta+1]     // finalSum Ci += old Cr * Bi
	;; [unrolled: 5-line block ×3, first 2 shown]
_buffer_store_b64 v[24:25], v17, s[sgprSrdD:sgprSrdD+3], 0, offen, offset:0,  nt // store D
s_nop 0                                            // 1 wait state required when next inst writes vgprs held by previous dwordx4 store inst
/* optSingleColVgpr=0 optSharedColVgpr=0 optSGPRUsage=BufferLoad_Edge_Mask optSrdIncForRow=0 */
s_sleep 3 // optimization: sync and wait
s_barrier

/******************************************/
/* Global Write Alpha Beta Edge Batch #9 (d1,d0,vc1,vc0) = */
/*    (2,0,1,0:vw1); (2,0,1,1:vw1); (2,1,1,0:vw1); (2,1,1,1:vw1) */
/******************************************/

/* calc coords, apply mask, and issue loads (if necessary) */
/* (d1,vc1,d0,vc0)=(2,1,0,0) */
_v_add_co_u32 v1, vcc, v1, 1                       // coord1.1: coord1Vgpr += d1*sg1*VW + vc1

/* Fix for UseInitialStridesCD, emitAddressSetupCode */
_v_add_u32 v2, v2, s[sgprStrideC1J]                // ROWINC- Move cinRowPtr to next row
_v_add_u32 v3, v3, s[sgprStrideD1J]                // Move coutRowPtr to next row
v_cmp_lt_u32 s[56:57], v0, s[sgprSizeI]            // coord0 < size0
v_cmp_lt_u32 s[60:61], v1, s[sgprSizeJ]            // coord1 < size1
s_and_b64 s[60:61], s[56:57], s[60:61]             // in0 && in1
_v_add_lshl_u32 v6, v2, v0, 0x3                    // scaleToBpe: accumulate d0 lower and *= bpe into Cin addr
v_cndmask_b32 v6, -1, v6, s[60:61]                 // LDC clip if OOB. offset
_buffer_load_b64 v[8:9], v6, s[sgprSrdC:sgprSrdC+3], 0, offen offset:0,  nt // load C for beta calc
_v_add_lshl_u32 v6, v3, v0, 0x3                    // scaleToBpe: accumulate d0 lower and *= bpe into Cin addr
v_cndmask_b32 v6, -1, v6, s[60:61]                 // LDD clip if OOB. offset
/* (d1,vc1,d0,vc0)=(2,1,0,1) */
_v_add_co_u32 v4, vcc, v0, 1                       // coord0.1: coord0 += d0*sg0*VW + vc0
v_cmp_lt_u32 s[56:57], v4, s[sgprSizeI]            // coord0 < size0
v_cmp_lt_u32 s[60:61], v1, s[sgprSizeJ]            // coord1 < size1
s_and_b64 s[60:61], s[56:57], s[60:61]             // in0 && in1
_v_add_lshl_u32 v7, v2, v4, 0x3                    // scaleToBpe: accumulate d0 lower and *= bpe into Cin addr
v_cndmask_b32 v7, -1, v7, s[60:61]                 // LDC clip if OOB. offset
_buffer_load_b64 v[12:13], v7, s[sgprSrdC:sgprSrdC+3], 0, offen offset:0,  nt // load C for beta calc
_v_add_lshl_u32 v7, v3, v4, 0x3                    // scaleToBpe: accumulate d0 lower and *= bpe into Cin addr
v_cndmask_b32 v7, -1, v7, s[60:61]                 // LDD clip if OOB. offset
/* (d1,vc1,d0,vc0)=(2,1,1,0) */
s_mov_b32 s56, 128                                 // coordOffset0 d0=1 vc0=0
_v_add_co_u32 v4, vcc, v0, s56                     // coord0.2: coord0 += d0*sg0*VW + vc0
v_cmp_lt_u32 s[56:57], v4, s[sgprSizeI]            // coord0 < size0
v_cmp_lt_u32 s[60:61], v1, s[sgprSizeJ]            // coord1 < size1
s_and_b64 s[60:61], s[56:57], s[60:61]             // in0 && in1
_v_add_lshl_u32 v16, v2, v4, 0x3                   // scaleToBpe: accumulate d0 lower and *= bpe into Cin addr
v_cndmask_b32 v16, -1, v16, s[60:61]               // LDC clip if OOB. offset
_buffer_load_b64 v[18:19], v16, s[sgprSrdC:sgprSrdC+3], 0, offen offset:0,  nt // load C for beta calc
_v_add_lshl_u32 v16, v3, v4, 0x3                   // scaleToBpe: accumulate d0 lower and *= bpe into Cin addr
v_cndmask_b32 v16, -1, v16, s[60:61]               // LDD clip if OOB. offset
/* (d1,vc1,d0,vc0)=(2,1,1,1) */
s_mov_b32 s56, 129                                 // coordOffset0 d0=1 vc0=1
_v_add_co_u32 v4, vcc, v0, s56                     // coord0.2: coord0 += d0*sg0*VW + vc0
v_cmp_lt_u32 s[56:57], v4, s[sgprSizeI]            // coord0 < size0
v_cmp_lt_u32 s[60:61], v1, s[sgprSizeJ]            // coord1 < size1
s_and_b64 s[60:61], s[56:57], s[60:61]             // in0 && in1
_v_add_lshl_u32 v17, v2, v4, 0x3                   // scaleToBpe: accumulate d0 lower and *= bpe into Cin addr
v_cndmask_b32 v17, -1, v17, s[60:61]               // LDC clip if OOB. offset
_buffer_load_b64 v[22:23], v17, s[sgprSrdC:sgprSrdC+3], 0, offen offset:0,  nt // load C for beta calc
_v_add_lshl_u32 v17, v3, v4, 0x3                   // scaleToBpe: accumulate d0 lower and *= bpe into Cin addr
v_cndmask_b32 v17, -1, v17, s[60:61]               // LDD clip if OOB. offset
s_sleep 3 // optimization: sync and wait
s_barrier
v_accvgpr_read_b32 v[vgprValuC+10], acc33 // copy acc to vreg[72]
v_accvgpr_read_b32 v[vgprValuC+11], acc145 // copy acc to vreg[73]
v_accvgpr_read_b32 v[vgprValuC+14], acc37 // copy acc to vreg[74]
v_accvgpr_read_b32 v[vgprValuC+15], acc149 // copy acc to vreg[75]
v_accvgpr_read_b32 v[vgprValuC+20], acc41 // copy acc to vreg[76]
v_accvgpr_read_b32 v[vgprValuC+21], acc153 // copy acc to vreg[77]
v_accvgpr_read_b32 v[vgprValuC+24], acc45 // copy acc to vreg[78]
v_accvgpr_read_b32 v[vgprValuC+25], acc157 // copy acc to vreg[79]
s_nop 1                                            // 2 wait states required before reading vgpr

/* rC *= alpha batchElements=[(2, 0, 1, 0), (2, 0, 1, 1), (2, 1, 1, 0), (2, 1, 1, 1)] */
v_mov_b32 v26, v[vgprValuC+10]                     // store Cr
v_mul_f32 v[vgprValuC+10], s[sgprAlpha], v[vgprValuC+10] // *= alpha ( Cr = Ar * Cr)
_v_mac_f32 v[vgprValuC+10], -s[sgprAlpha+1], v[vgprValuC+11] // *= alpha ( Cr += -Ai * Ci )
v_mul_f32 v[vgprValuC+11], s[sgprAlpha], v[vgprValuC+11] // *= alpha ( Ci = Ar * Ci)
_v_mac_f32 v[vgprValuC+11], s[sgprAlpha+1], v26    // *= alpha ( Ci += Ai * Cr_backup )
v_mov_b32 v26, v[vgprValuC+14]                     // store Cr
v_mul_f32 v[vgprValuC+14], s[sgprAlpha], v[vgprValuC+14] // *= alpha ( Cr = Ar * Cr)
_v_mac_f32 v[vgprValuC+14], -s[sgprAlpha+1], v[vgprValuC+15] // *= alpha ( Cr += -Ai * Ci )
v_mul_f32 v[vgprValuC+15], s[sgprAlpha], v[vgprValuC+15] // *= alpha ( Ci = Ar * Ci)
_v_mac_f32 v[vgprValuC+15], s[sgprAlpha+1], v26    // *= alpha ( Ci += Ai * Cr_backup )
v_mov_b32 v26, v[vgprValuC+20]                     // store Cr
v_mul_f32 v[vgprValuC+20], s[sgprAlpha], v[vgprValuC+20] // *= alpha ( Cr = Ar * Cr)
_v_mac_f32 v[vgprValuC+20], -s[sgprAlpha+1], v[vgprValuC+21] // *= alpha ( Cr += -Ai * Ci )
v_mul_f32 v[vgprValuC+21], s[sgprAlpha], v[vgprValuC+21] // *= alpha ( Ci = Ar * Ci)
_v_mac_f32 v[vgprValuC+21], s[sgprAlpha+1], v26    // *= alpha ( Ci += Ai * Cr_backup )
v_mov_b32 v26, v[vgprValuC+24]                     // store Cr
v_mul_f32 v[vgprValuC+24], s[sgprAlpha], v[vgprValuC+24] // *= alpha ( Cr = Ar * Cr)
_v_mac_f32 v[vgprValuC+24], -s[sgprAlpha+1], v[vgprValuC+25] // *= alpha ( Cr += -Ai * Ci )
v_mul_f32 v[vgprValuC+25], s[sgprAlpha], v[vgprValuC+25] // *= alpha ( Ci = Ar * Ci)
_v_mac_f32 v[vgprValuC+25], s[sgprAlpha+1], v26    // *= alpha ( Ci += Ai * Cr_backup )
s_waitcnt vmcnt(0)                                 // wait C

/* apply mask, calc new C and issue writes */
_v_mac_f32 v[vgprValuC+10], v8, s[sgprBeta]        // finalSum Cr += old Cr * Br
_v_mac_f32 v[vgprValuC+10], v9, -s[sgprBeta+1]     // finalSum Cr += old Ci * -Bi
_v_mac_f32 v[vgprValuC+11], v9, s[sgprBeta]        // finalSum Ci += old Ci * Br
_v_mac_f32 v[vgprValuC+11], v8, s[sgprBeta+1]      // finalSum Ci += old Cr * Bi
_buffer_store_b64 v[10:11], v6, s[sgprSrdD:sgprSrdD+3], 0, offen, offset:0,  nt // store D
_v_mac_f32 v[vgprValuC+14], v12, s[sgprBeta]       // finalSum Cr += old Cr * Br
_v_mac_f32 v[vgprValuC+14], v13, -s[sgprBeta+1]    // finalSum Cr += old Ci * -Bi
_v_mac_f32 v[vgprValuC+15], v13, s[sgprBeta]       // finalSum Ci += old Ci * Br
_v_mac_f32 v[vgprValuC+15], v12, s[sgprBeta+1]     // finalSum Ci += old Cr * Bi
_buffer_store_b64 v[14:15], v7, s[sgprSrdD:sgprSrdD+3], 0, offen, offset:0,  nt // store D
_v_mac_f32 v[vgprValuC+20], v18, s[sgprBeta]       // finalSum Cr += old Cr * Br
_v_mac_f32 v[vgprValuC+20], v19, -s[sgprBeta+1]    // finalSum Cr += old Ci * -Bi
_v_mac_f32 v[vgprValuC+21], v19, s[sgprBeta]       // finalSum Ci += old Ci * Br
_v_mac_f32 v[vgprValuC+21], v18, s[sgprBeta+1]     // finalSum Ci += old Cr * Bi
	;; [unrolled: 5-line block ×3, first 2 shown]
_buffer_store_b64 v[24:25], v17, s[sgprSrdD:sgprSrdD+3], 0, offen, offset:0,  nt // store D
s_nop 0                                            // 1 wait state required when next inst writes vgprs held by previous dwordx4 store inst
/* optSingleColVgpr=0 optSharedColVgpr=0 optSGPRUsage=BufferLoad_Edge_Mask optSrdIncForRow=0 */
s_sleep 3 // optimization: sync and wait
s_barrier

/******************************************/
/* Global Write Alpha Beta Edge Batch #10 (d1,d0,vc1,vc0) = */
/*    (2,0,2,0:vw1); (2,0,2,1:vw1); (2,1,2,0:vw1); (2,1,2,1:vw1) */
/******************************************/

/* calc coords, apply mask, and issue loads (if necessary) */
/* (d1,vc1,d0,vc0)=(2,2,0,0) */
_v_add_co_u32 v1, vcc, v1, 1                       // coord1.1: coord1Vgpr += d1*sg1*VW + vc1

/* Fix for UseInitialStridesCD, emitAddressSetupCode */
_v_add_u32 v2, v2, s[sgprStrideC1J]                // ROWINC- Move cinRowPtr to next row
_v_add_u32 v3, v3, s[sgprStrideD1J]                // Move coutRowPtr to next row
v_cmp_lt_u32 s[56:57], v0, s[sgprSizeI]            // coord0 < size0
v_cmp_lt_u32 s[60:61], v1, s[sgprSizeJ]            // coord1 < size1
s_and_b64 s[60:61], s[56:57], s[60:61]             // in0 && in1
_v_add_lshl_u32 v6, v2, v0, 0x3                    // scaleToBpe: accumulate d0 lower and *= bpe into Cin addr
v_cndmask_b32 v6, -1, v6, s[60:61]                 // LDC clip if OOB. offset
_buffer_load_b64 v[8:9], v6, s[sgprSrdC:sgprSrdC+3], 0, offen offset:0,  nt // load C for beta calc
_v_add_lshl_u32 v6, v3, v0, 0x3                    // scaleToBpe: accumulate d0 lower and *= bpe into Cin addr
v_cndmask_b32 v6, -1, v6, s[60:61]                 // LDD clip if OOB. offset
/* (d1,vc1,d0,vc0)=(2,2,0,1) */
_v_add_co_u32 v4, vcc, v0, 1                       // coord0.1: coord0 += d0*sg0*VW + vc0
v_cmp_lt_u32 s[56:57], v4, s[sgprSizeI]            // coord0 < size0
v_cmp_lt_u32 s[60:61], v1, s[sgprSizeJ]            // coord1 < size1
s_and_b64 s[60:61], s[56:57], s[60:61]             // in0 && in1
_v_add_lshl_u32 v7, v2, v4, 0x3                    // scaleToBpe: accumulate d0 lower and *= bpe into Cin addr
v_cndmask_b32 v7, -1, v7, s[60:61]                 // LDC clip if OOB. offset
_buffer_load_b64 v[12:13], v7, s[sgprSrdC:sgprSrdC+3], 0, offen offset:0,  nt // load C for beta calc
_v_add_lshl_u32 v7, v3, v4, 0x3                    // scaleToBpe: accumulate d0 lower and *= bpe into Cin addr
v_cndmask_b32 v7, -1, v7, s[60:61]                 // LDD clip if OOB. offset
/* (d1,vc1,d0,vc0)=(2,2,1,0) */
s_mov_b32 s56, 128                                 // coordOffset0 d0=1 vc0=0
_v_add_co_u32 v4, vcc, v0, s56                     // coord0.2: coord0 += d0*sg0*VW + vc0
v_cmp_lt_u32 s[56:57], v4, s[sgprSizeI]            // coord0 < size0
v_cmp_lt_u32 s[60:61], v1, s[sgprSizeJ]            // coord1 < size1
s_and_b64 s[60:61], s[56:57], s[60:61]             // in0 && in1
_v_add_lshl_u32 v16, v2, v4, 0x3                   // scaleToBpe: accumulate d0 lower and *= bpe into Cin addr
v_cndmask_b32 v16, -1, v16, s[60:61]               // LDC clip if OOB. offset
_buffer_load_b64 v[18:19], v16, s[sgprSrdC:sgprSrdC+3], 0, offen offset:0,  nt // load C for beta calc
_v_add_lshl_u32 v16, v3, v4, 0x3                   // scaleToBpe: accumulate d0 lower and *= bpe into Cin addr
v_cndmask_b32 v16, -1, v16, s[60:61]               // LDD clip if OOB. offset
/* (d1,vc1,d0,vc0)=(2,2,1,1) */
s_mov_b32 s56, 129                                 // coordOffset0 d0=1 vc0=1
_v_add_co_u32 v4, vcc, v0, s56                     // coord0.2: coord0 += d0*sg0*VW + vc0
v_cmp_lt_u32 s[56:57], v4, s[sgprSizeI]            // coord0 < size0
v_cmp_lt_u32 s[60:61], v1, s[sgprSizeJ]            // coord1 < size1
s_and_b64 s[60:61], s[56:57], s[60:61]             // in0 && in1
_v_add_lshl_u32 v17, v2, v4, 0x3                   // scaleToBpe: accumulate d0 lower and *= bpe into Cin addr
v_cndmask_b32 v17, -1, v17, s[60:61]               // LDC clip if OOB. offset
_buffer_load_b64 v[22:23], v17, s[sgprSrdC:sgprSrdC+3], 0, offen offset:0,  nt // load C for beta calc
_v_add_lshl_u32 v17, v3, v4, 0x3                   // scaleToBpe: accumulate d0 lower and *= bpe into Cin addr
v_cndmask_b32 v17, -1, v17, s[60:61]               // LDD clip if OOB. offset
s_sleep 3 // optimization: sync and wait
s_barrier
v_accvgpr_read_b32 v[vgprValuC+10], acc34 // copy acc to vreg[80]
v_accvgpr_read_b32 v[vgprValuC+11], acc146 // copy acc to vreg[81]
v_accvgpr_read_b32 v[vgprValuC+14], acc38 // copy acc to vreg[82]
v_accvgpr_read_b32 v[vgprValuC+15], acc150 // copy acc to vreg[83]
v_accvgpr_read_b32 v[vgprValuC+20], acc42 // copy acc to vreg[84]
v_accvgpr_read_b32 v[vgprValuC+21], acc154 // copy acc to vreg[85]
v_accvgpr_read_b32 v[vgprValuC+24], acc46 // copy acc to vreg[86]
v_accvgpr_read_b32 v[vgprValuC+25], acc158 // copy acc to vreg[87]
s_nop 1                                            // 2 wait states required before reading vgpr

/* rC *= alpha batchElements=[(2, 0, 2, 0), (2, 0, 2, 1), (2, 1, 2, 0), (2, 1, 2, 1)] */
v_mov_b32 v26, v[vgprValuC+10]                     // store Cr
v_mul_f32 v[vgprValuC+10], s[sgprAlpha], v[vgprValuC+10] // *= alpha ( Cr = Ar * Cr)
_v_mac_f32 v[vgprValuC+10], -s[sgprAlpha+1], v[vgprValuC+11] // *= alpha ( Cr += -Ai * Ci )
v_mul_f32 v[vgprValuC+11], s[sgprAlpha], v[vgprValuC+11] // *= alpha ( Ci = Ar * Ci)
_v_mac_f32 v[vgprValuC+11], s[sgprAlpha+1], v26    // *= alpha ( Ci += Ai * Cr_backup )
v_mov_b32 v26, v[vgprValuC+14]                     // store Cr
v_mul_f32 v[vgprValuC+14], s[sgprAlpha], v[vgprValuC+14] // *= alpha ( Cr = Ar * Cr)
_v_mac_f32 v[vgprValuC+14], -s[sgprAlpha+1], v[vgprValuC+15] // *= alpha ( Cr += -Ai * Ci )
v_mul_f32 v[vgprValuC+15], s[sgprAlpha], v[vgprValuC+15] // *= alpha ( Ci = Ar * Ci)
_v_mac_f32 v[vgprValuC+15], s[sgprAlpha+1], v26    // *= alpha ( Ci += Ai * Cr_backup )
	;; [unrolled: 5-line block ×4, first 2 shown]
s_waitcnt vmcnt(0)                                 // wait C

/* apply mask, calc new C and issue writes */
_v_mac_f32 v[vgprValuC+10], v8, s[sgprBeta]        // finalSum Cr += old Cr * Br
_v_mac_f32 v[vgprValuC+10], v9, -s[sgprBeta+1]     // finalSum Cr += old Ci * -Bi
_v_mac_f32 v[vgprValuC+11], v9, s[sgprBeta]        // finalSum Ci += old Ci * Br
_v_mac_f32 v[vgprValuC+11], v8, s[sgprBeta+1]      // finalSum Ci += old Cr * Bi
_buffer_store_b64 v[10:11], v6, s[sgprSrdD:sgprSrdD+3], 0, offen, offset:0,  nt // store D
_v_mac_f32 v[vgprValuC+14], v12, s[sgprBeta]       // finalSum Cr += old Cr * Br
_v_mac_f32 v[vgprValuC+14], v13, -s[sgprBeta+1]    // finalSum Cr += old Ci * -Bi
_v_mac_f32 v[vgprValuC+15], v13, s[sgprBeta]       // finalSum Ci += old Ci * Br
_v_mac_f32 v[vgprValuC+15], v12, s[sgprBeta+1]     // finalSum Ci += old Cr * Bi
_buffer_store_b64 v[14:15], v7, s[sgprSrdD:sgprSrdD+3], 0, offen, offset:0,  nt // store D
_v_mac_f32 v[vgprValuC+20], v18, s[sgprBeta]       // finalSum Cr += old Cr * Br
_v_mac_f32 v[vgprValuC+20], v19, -s[sgprBeta+1]    // finalSum Cr += old Ci * -Bi
_v_mac_f32 v[vgprValuC+21], v19, s[sgprBeta]       // finalSum Ci += old Ci * Br
_v_mac_f32 v[vgprValuC+21], v18, s[sgprBeta+1]     // finalSum Ci += old Cr * Bi
_buffer_store_b64 v[20:21], v16, s[sgprSrdD:sgprSrdD+3], 0, offen, offset:0,  nt // store D
_v_mac_f32 v[vgprValuC+24], v22, s[sgprBeta]       // finalSum Cr += old Cr * Br
_v_mac_f32 v[vgprValuC+24], v23, -s[sgprBeta+1]    // finalSum Cr += old Ci * -Bi
_v_mac_f32 v[vgprValuC+25], v23, s[sgprBeta]       // finalSum Ci += old Ci * Br
_v_mac_f32 v[vgprValuC+25], v22, s[sgprBeta+1]     // finalSum Ci += old Cr * Bi
_buffer_store_b64 v[24:25], v17, s[sgprSrdD:sgprSrdD+3], 0, offen, offset:0,  nt // store D
s_nop 0                                            // 1 wait state required when next inst writes vgprs held by previous dwordx4 store inst
/* optSingleColVgpr=0 optSharedColVgpr=0 optSGPRUsage=BufferLoad_Edge_Mask optSrdIncForRow=0 */
s_sleep 3 // optimization: sync and wait
s_barrier

/******************************************/
/* Global Write Alpha Beta Edge Batch #11 (d1,d0,vc1,vc0) = */
/*    (2,0,3,0:vw1); (2,0,3,1:vw1); (2,1,3,0:vw1); (2,1,3,1:vw1) */
/******************************************/

/* calc coords, apply mask, and issue loads (if necessary) */
/* (d1,vc1,d0,vc0)=(2,3,0,0) */
_v_add_co_u32 v1, vcc, v1, 1                       // coord1.1: coord1Vgpr += d1*sg1*VW + vc1

/* Fix for UseInitialStridesCD, emitAddressSetupCode */
_v_add_u32 v2, v2, s[sgprStrideC1J]                // ROWINC- Move cinRowPtr to next row
_v_add_u32 v3, v3, s[sgprStrideD1J]                // Move coutRowPtr to next row
v_cmp_lt_u32 s[56:57], v0, s[sgprSizeI]            // coord0 < size0
v_cmp_lt_u32 s[60:61], v1, s[sgprSizeJ]            // coord1 < size1
s_and_b64 s[60:61], s[56:57], s[60:61]             // in0 && in1
_v_add_lshl_u32 v6, v2, v0, 0x3                    // scaleToBpe: accumulate d0 lower and *= bpe into Cin addr
v_cndmask_b32 v6, -1, v6, s[60:61]                 // LDC clip if OOB. offset
_buffer_load_b64 v[8:9], v6, s[sgprSrdC:sgprSrdC+3], 0, offen offset:0,  nt // load C for beta calc
_v_add_lshl_u32 v6, v3, v0, 0x3                    // scaleToBpe: accumulate d0 lower and *= bpe into Cin addr
v_cndmask_b32 v6, -1, v6, s[60:61]                 // LDD clip if OOB. offset
/* (d1,vc1,d0,vc0)=(2,3,0,1) */
_v_add_co_u32 v4, vcc, v0, 1                       // coord0.1: coord0 += d0*sg0*VW + vc0
v_cmp_lt_u32 s[56:57], v4, s[sgprSizeI]            // coord0 < size0
v_cmp_lt_u32 s[60:61], v1, s[sgprSizeJ]            // coord1 < size1
s_and_b64 s[60:61], s[56:57], s[60:61]             // in0 && in1
_v_add_lshl_u32 v7, v2, v4, 0x3                    // scaleToBpe: accumulate d0 lower and *= bpe into Cin addr
v_cndmask_b32 v7, -1, v7, s[60:61]                 // LDC clip if OOB. offset
_buffer_load_b64 v[12:13], v7, s[sgprSrdC:sgprSrdC+3], 0, offen offset:0,  nt // load C for beta calc
_v_add_lshl_u32 v7, v3, v4, 0x3                    // scaleToBpe: accumulate d0 lower and *= bpe into Cin addr
v_cndmask_b32 v7, -1, v7, s[60:61]                 // LDD clip if OOB. offset
/* (d1,vc1,d0,vc0)=(2,3,1,0) */
s_mov_b32 s56, 128                                 // coordOffset0 d0=1 vc0=0
_v_add_co_u32 v4, vcc, v0, s56                     // coord0.2: coord0 += d0*sg0*VW + vc0
v_cmp_lt_u32 s[56:57], v4, s[sgprSizeI]            // coord0 < size0
v_cmp_lt_u32 s[60:61], v1, s[sgprSizeJ]            // coord1 < size1
s_and_b64 s[60:61], s[56:57], s[60:61]             // in0 && in1
_v_add_lshl_u32 v16, v2, v4, 0x3                   // scaleToBpe: accumulate d0 lower and *= bpe into Cin addr
v_cndmask_b32 v16, -1, v16, s[60:61]               // LDC clip if OOB. offset
_buffer_load_b64 v[18:19], v16, s[sgprSrdC:sgprSrdC+3], 0, offen offset:0,  nt // load C for beta calc
_v_add_lshl_u32 v16, v3, v4, 0x3                   // scaleToBpe: accumulate d0 lower and *= bpe into Cin addr
v_cndmask_b32 v16, -1, v16, s[60:61]               // LDD clip if OOB. offset
/* (d1,vc1,d0,vc0)=(2,3,1,1) */
s_mov_b32 s56, 129                                 // coordOffset0 d0=1 vc0=1
_v_add_co_u32 v4, vcc, v0, s56                     // coord0.2: coord0 += d0*sg0*VW + vc0
v_cmp_lt_u32 s[56:57], v4, s[sgprSizeI]            // coord0 < size0
v_cmp_lt_u32 s[60:61], v1, s[sgprSizeJ]            // coord1 < size1
s_and_b64 s[60:61], s[56:57], s[60:61]             // in0 && in1
_v_add_lshl_u32 v17, v2, v4, 0x3                   // scaleToBpe: accumulate d0 lower and *= bpe into Cin addr
v_cndmask_b32 v17, -1, v17, s[60:61]               // LDC clip if OOB. offset
_buffer_load_b64 v[22:23], v17, s[sgprSrdC:sgprSrdC+3], 0, offen offset:0,  nt // load C for beta calc
_v_add_lshl_u32 v17, v3, v4, 0x3                   // scaleToBpe: accumulate d0 lower and *= bpe into Cin addr
v_cndmask_b32 v17, -1, v17, s[60:61]               // LDD clip if OOB. offset
s_sleep 3 // optimization: sync and wait
s_barrier
v_accvgpr_read_b32 v[vgprValuC+10], acc35 // copy acc to vreg[88]
v_accvgpr_read_b32 v[vgprValuC+11], acc147 // copy acc to vreg[89]
v_accvgpr_read_b32 v[vgprValuC+14], acc39 // copy acc to vreg[90]
v_accvgpr_read_b32 v[vgprValuC+15], acc151 // copy acc to vreg[91]
v_accvgpr_read_b32 v[vgprValuC+20], acc43 // copy acc to vreg[92]
v_accvgpr_read_b32 v[vgprValuC+21], acc155 // copy acc to vreg[93]
v_accvgpr_read_b32 v[vgprValuC+24], acc47 // copy acc to vreg[94]
v_accvgpr_read_b32 v[vgprValuC+25], acc159 // copy acc to vreg[95]
s_nop 1                                            // 2 wait states required before reading vgpr

/* rC *= alpha batchElements=[(2, 0, 3, 0), (2, 0, 3, 1), (2, 1, 3, 0), (2, 1, 3, 1)] */
v_mov_b32 v26, v[vgprValuC+10]                     // store Cr
v_mul_f32 v[vgprValuC+10], s[sgprAlpha], v[vgprValuC+10] // *= alpha ( Cr = Ar * Cr)
_v_mac_f32 v[vgprValuC+10], -s[sgprAlpha+1], v[vgprValuC+11] // *= alpha ( Cr += -Ai * Ci )
v_mul_f32 v[vgprValuC+11], s[sgprAlpha], v[vgprValuC+11] // *= alpha ( Ci = Ar * Ci)
_v_mac_f32 v[vgprValuC+11], s[sgprAlpha+1], v26    // *= alpha ( Ci += Ai * Cr_backup )
v_mov_b32 v26, v[vgprValuC+14]                     // store Cr
v_mul_f32 v[vgprValuC+14], s[sgprAlpha], v[vgprValuC+14] // *= alpha ( Cr = Ar * Cr)
_v_mac_f32 v[vgprValuC+14], -s[sgprAlpha+1], v[vgprValuC+15] // *= alpha ( Cr += -Ai * Ci )
v_mul_f32 v[vgprValuC+15], s[sgprAlpha], v[vgprValuC+15] // *= alpha ( Ci = Ar * Ci)
_v_mac_f32 v[vgprValuC+15], s[sgprAlpha+1], v26    // *= alpha ( Ci += Ai * Cr_backup )
	;; [unrolled: 5-line block ×4, first 2 shown]
s_waitcnt vmcnt(0)                                 // wait C

/* apply mask, calc new C and issue writes */
_v_mac_f32 v[vgprValuC+10], v8, s[sgprBeta]        // finalSum Cr += old Cr * Br
_v_mac_f32 v[vgprValuC+10], v9, -s[sgprBeta+1]     // finalSum Cr += old Ci * -Bi
_v_mac_f32 v[vgprValuC+11], v9, s[sgprBeta]        // finalSum Ci += old Ci * Br
_v_mac_f32 v[vgprValuC+11], v8, s[sgprBeta+1]      // finalSum Ci += old Cr * Bi
_buffer_store_b64 v[10:11], v6, s[sgprSrdD:sgprSrdD+3], 0, offen, offset:0,  nt // store D
_v_mac_f32 v[vgprValuC+14], v12, s[sgprBeta]       // finalSum Cr += old Cr * Br
_v_mac_f32 v[vgprValuC+14], v13, -s[sgprBeta+1]    // finalSum Cr += old Ci * -Bi
_v_mac_f32 v[vgprValuC+15], v13, s[sgprBeta]       // finalSum Ci += old Ci * Br
_v_mac_f32 v[vgprValuC+15], v12, s[sgprBeta+1]     // finalSum Ci += old Cr * Bi
_buffer_store_b64 v[14:15], v7, s[sgprSrdD:sgprSrdD+3], 0, offen, offset:0,  nt // store D
_v_mac_f32 v[vgprValuC+20], v18, s[sgprBeta]       // finalSum Cr += old Cr * Br
_v_mac_f32 v[vgprValuC+20], v19, -s[sgprBeta+1]    // finalSum Cr += old Ci * -Bi
_v_mac_f32 v[vgprValuC+21], v19, s[sgprBeta]       // finalSum Ci += old Ci * Br
_v_mac_f32 v[vgprValuC+21], v18, s[sgprBeta+1]     // finalSum Ci += old Cr * Bi
	;; [unrolled: 5-line block ×3, first 2 shown]
_buffer_store_b64 v[24:25], v17, s[sgprSrdD:sgprSrdD+3], 0, offen, offset:0,  nt // store D
s_nop 0                                            // 1 wait state required when next inst writes vgprs held by previous dwordx4 store inst
/* optSingleColVgpr=0 optSharedColVgpr=0 optSGPRUsage=BufferLoad_Edge_Mask optSrdIncForRow=0 */
s_sleep 3 // optimization: sync and wait
s_barrier

/******************************************/
/* Global Write Alpha Beta Edge Batch #12 (d1,d0,vc1,vc0) = */
/*    (3,0,0,0:vw1); (3,0,0,1:vw1); (3,1,0,0:vw1); (3,1,0,1:vw1) */
/******************************************/

/* calc coords, apply mask, and issue loads (if necessary) */
/* (d1,vc1,d0,vc0)=(3,0,0,0) */
_v_add_co_u32 v1, vcc, v1, 13                      // coord1.1: coord1Vgpr += d1*sg1*VW + vc1

/* Fix for UseInitialStridesCD, emitAddressSetupCode */
s_mul_i32 s56, s[sgprStrideC1J], 13                // scale stride
_v_add_u32 v2, v2, s56                             // ROWINC- Move cinRowPtr to next row
s_mul_i32 s56, s[sgprStrideD1J], 13                // scale stride
_v_add_u32 v3, v3, s56                             // Move coutRowPtr to next row
v_cmp_lt_u32 s[56:57], v0, s[sgprSizeI]            // coord0 < size0
v_cmp_lt_u32 s[60:61], v1, s[sgprSizeJ]            // coord1 < size1
s_and_b64 s[60:61], s[56:57], s[60:61]             // in0 && in1
_v_add_lshl_u32 v6, v2, v0, 0x3                    // scaleToBpe: accumulate d0 lower and *= bpe into Cin addr
v_cndmask_b32 v6, -1, v6, s[60:61]                 // LDC clip if OOB. offset
_buffer_load_b64 v[8:9], v6, s[sgprSrdC:sgprSrdC+3], 0, offen offset:0,  nt // load C for beta calc
_v_add_lshl_u32 v6, v3, v0, 0x3                    // scaleToBpe: accumulate d0 lower and *= bpe into Cin addr
v_cndmask_b32 v6, -1, v6, s[60:61]                 // LDD clip if OOB. offset
/* (d1,vc1,d0,vc0)=(3,0,0,1) */
_v_add_co_u32 v4, vcc, v0, 1                       // coord0.1: coord0 += d0*sg0*VW + vc0
v_cmp_lt_u32 s[56:57], v4, s[sgprSizeI]            // coord0 < size0
v_cmp_lt_u32 s[60:61], v1, s[sgprSizeJ]            // coord1 < size1
s_and_b64 s[60:61], s[56:57], s[60:61]             // in0 && in1
_v_add_lshl_u32 v7, v2, v4, 0x3                    // scaleToBpe: accumulate d0 lower and *= bpe into Cin addr
v_cndmask_b32 v7, -1, v7, s[60:61]                 // LDC clip if OOB. offset
_buffer_load_b64 v[12:13], v7, s[sgprSrdC:sgprSrdC+3], 0, offen offset:0,  nt // load C for beta calc
_v_add_lshl_u32 v7, v3, v4, 0x3                    // scaleToBpe: accumulate d0 lower and *= bpe into Cin addr
v_cndmask_b32 v7, -1, v7, s[60:61]                 // LDD clip if OOB. offset
/* (d1,vc1,d0,vc0)=(3,0,1,0) */
s_mov_b32 s56, 128                                 // coordOffset0 d0=1 vc0=0
_v_add_co_u32 v4, vcc, v0, s56                     // coord0.2: coord0 += d0*sg0*VW + vc0
v_cmp_lt_u32 s[56:57], v4, s[sgprSizeI]            // coord0 < size0
v_cmp_lt_u32 s[60:61], v1, s[sgprSizeJ]            // coord1 < size1
s_and_b64 s[60:61], s[56:57], s[60:61]             // in0 && in1
_v_add_lshl_u32 v16, v2, v4, 0x3                   // scaleToBpe: accumulate d0 lower and *= bpe into Cin addr
v_cndmask_b32 v16, -1, v16, s[60:61]               // LDC clip if OOB. offset
_buffer_load_b64 v[18:19], v16, s[sgprSrdC:sgprSrdC+3], 0, offen offset:0,  nt // load C for beta calc
_v_add_lshl_u32 v16, v3, v4, 0x3                   // scaleToBpe: accumulate d0 lower and *= bpe into Cin addr
v_cndmask_b32 v16, -1, v16, s[60:61]               // LDD clip if OOB. offset
/* (d1,vc1,d0,vc0)=(3,0,1,1) */
s_mov_b32 s56, 129                                 // coordOffset0 d0=1 vc0=1
_v_add_co_u32 v4, vcc, v0, s56                     // coord0.2: coord0 += d0*sg0*VW + vc0
v_cmp_lt_u32 s[56:57], v4, s[sgprSizeI]            // coord0 < size0
v_cmp_lt_u32 s[60:61], v1, s[sgprSizeJ]            // coord1 < size1
s_and_b64 s[60:61], s[56:57], s[60:61]             // in0 && in1
_v_add_lshl_u32 v17, v2, v4, 0x3                   // scaleToBpe: accumulate d0 lower and *= bpe into Cin addr
v_cndmask_b32 v17, -1, v17, s[60:61]               // LDC clip if OOB. offset
_buffer_load_b64 v[22:23], v17, s[sgprSrdC:sgprSrdC+3], 0, offen offset:0,  nt // load C for beta calc
_v_add_lshl_u32 v17, v3, v4, 0x3                   // scaleToBpe: accumulate d0 lower and *= bpe into Cin addr
v_cndmask_b32 v17, -1, v17, s[60:61]               // LDD clip if OOB. offset
s_sleep 3 // optimization: sync and wait
s_barrier
v_accvgpr_read_b32 v[vgprValuC+10], acc48 // copy acc to vreg[96]
v_accvgpr_read_b32 v[vgprValuC+11], acc160 // copy acc to vreg[97]
v_accvgpr_read_b32 v[vgprValuC+14], acc52 // copy acc to vreg[98]
v_accvgpr_read_b32 v[vgprValuC+15], acc164 // copy acc to vreg[99]
v_accvgpr_read_b32 v[vgprValuC+20], acc56 // copy acc to vreg[100]
v_accvgpr_read_b32 v[vgprValuC+21], acc168 // copy acc to vreg[101]
v_accvgpr_read_b32 v[vgprValuC+24], acc60 // copy acc to vreg[102]
v_accvgpr_read_b32 v[vgprValuC+25], acc172 // copy acc to vreg[103]
s_nop 1                                            // 2 wait states required before reading vgpr

/* rC *= alpha batchElements=[(3, 0, 0, 0), (3, 0, 0, 1), (3, 1, 0, 0), (3, 1, 0, 1)] */
v_mov_b32 v26, v[vgprValuC+10]                     // store Cr
v_mul_f32 v[vgprValuC+10], s[sgprAlpha], v[vgprValuC+10] // *= alpha ( Cr = Ar * Cr)
_v_mac_f32 v[vgprValuC+10], -s[sgprAlpha+1], v[vgprValuC+11] // *= alpha ( Cr += -Ai * Ci )
v_mul_f32 v[vgprValuC+11], s[sgprAlpha], v[vgprValuC+11] // *= alpha ( Ci = Ar * Ci)
_v_mac_f32 v[vgprValuC+11], s[sgprAlpha+1], v26    // *= alpha ( Ci += Ai * Cr_backup )
v_mov_b32 v26, v[vgprValuC+14]                     // store Cr
v_mul_f32 v[vgprValuC+14], s[sgprAlpha], v[vgprValuC+14] // *= alpha ( Cr = Ar * Cr)
_v_mac_f32 v[vgprValuC+14], -s[sgprAlpha+1], v[vgprValuC+15] // *= alpha ( Cr += -Ai * Ci )
v_mul_f32 v[vgprValuC+15], s[sgprAlpha], v[vgprValuC+15] // *= alpha ( Ci = Ar * Ci)
_v_mac_f32 v[vgprValuC+15], s[sgprAlpha+1], v26    // *= alpha ( Ci += Ai * Cr_backup )
	;; [unrolled: 5-line block ×4, first 2 shown]
s_waitcnt vmcnt(0)                                 // wait C

/* apply mask, calc new C and issue writes */
_v_mac_f32 v[vgprValuC+10], v8, s[sgprBeta]        // finalSum Cr += old Cr * Br
_v_mac_f32 v[vgprValuC+10], v9, -s[sgprBeta+1]     // finalSum Cr += old Ci * -Bi
_v_mac_f32 v[vgprValuC+11], v9, s[sgprBeta]        // finalSum Ci += old Ci * Br
_v_mac_f32 v[vgprValuC+11], v8, s[sgprBeta+1]      // finalSum Ci += old Cr * Bi
_buffer_store_b64 v[10:11], v6, s[sgprSrdD:sgprSrdD+3], 0, offen, offset:0,  nt // store D
_v_mac_f32 v[vgprValuC+14], v12, s[sgprBeta]       // finalSum Cr += old Cr * Br
_v_mac_f32 v[vgprValuC+14], v13, -s[sgprBeta+1]    // finalSum Cr += old Ci * -Bi
_v_mac_f32 v[vgprValuC+15], v13, s[sgprBeta]       // finalSum Ci += old Ci * Br
_v_mac_f32 v[vgprValuC+15], v12, s[sgprBeta+1]     // finalSum Ci += old Cr * Bi
_buffer_store_b64 v[14:15], v7, s[sgprSrdD:sgprSrdD+3], 0, offen, offset:0,  nt // store D
_v_mac_f32 v[vgprValuC+20], v18, s[sgprBeta]       // finalSum Cr += old Cr * Br
_v_mac_f32 v[vgprValuC+20], v19, -s[sgprBeta+1]    // finalSum Cr += old Ci * -Bi
_v_mac_f32 v[vgprValuC+21], v19, s[sgprBeta]       // finalSum Ci += old Ci * Br
_v_mac_f32 v[vgprValuC+21], v18, s[sgprBeta+1]     // finalSum Ci += old Cr * Bi
_buffer_store_b64 v[20:21], v16, s[sgprSrdD:sgprSrdD+3], 0, offen, offset:0,  nt // store D
_v_mac_f32 v[vgprValuC+24], v22, s[sgprBeta]       // finalSum Cr += old Cr * Br
_v_mac_f32 v[vgprValuC+24], v23, -s[sgprBeta+1]    // finalSum Cr += old Ci * -Bi
_v_mac_f32 v[vgprValuC+25], v23, s[sgprBeta]       // finalSum Ci += old Ci * Br
_v_mac_f32 v[vgprValuC+25], v22, s[sgprBeta+1]     // finalSum Ci += old Cr * Bi
_buffer_store_b64 v[24:25], v17, s[sgprSrdD:sgprSrdD+3], 0, offen, offset:0,  nt // store D
s_nop 0                                            // 1 wait state required when next inst writes vgprs held by previous dwordx4 store inst
/* optSingleColVgpr=0 optSharedColVgpr=0 optSGPRUsage=BufferLoad_Edge_Mask optSrdIncForRow=0 */
s_sleep 3 // optimization: sync and wait
s_barrier

/******************************************/
/* Global Write Alpha Beta Edge Batch #13 (d1,d0,vc1,vc0) = */
/*    (3,0,1,0:vw1); (3,0,1,1:vw1); (3,1,1,0:vw1); (3,1,1,1:vw1) */
/******************************************/

/* calc coords, apply mask, and issue loads (if necessary) */
/* (d1,vc1,d0,vc0)=(3,1,0,0) */
_v_add_co_u32 v1, vcc, v1, 1                       // coord1.1: coord1Vgpr += d1*sg1*VW + vc1

/* Fix for UseInitialStridesCD, emitAddressSetupCode */
_v_add_u32 v2, v2, s[sgprStrideC1J]                // ROWINC- Move cinRowPtr to next row
_v_add_u32 v3, v3, s[sgprStrideD1J]                // Move coutRowPtr to next row
v_cmp_lt_u32 s[56:57], v0, s[sgprSizeI]            // coord0 < size0
v_cmp_lt_u32 s[60:61], v1, s[sgprSizeJ]            // coord1 < size1
s_and_b64 s[60:61], s[56:57], s[60:61]             // in0 && in1
_v_add_lshl_u32 v6, v2, v0, 0x3                    // scaleToBpe: accumulate d0 lower and *= bpe into Cin addr
v_cndmask_b32 v6, -1, v6, s[60:61]                 // LDC clip if OOB. offset
_buffer_load_b64 v[8:9], v6, s[sgprSrdC:sgprSrdC+3], 0, offen offset:0,  nt // load C for beta calc
_v_add_lshl_u32 v6, v3, v0, 0x3                    // scaleToBpe: accumulate d0 lower and *= bpe into Cin addr
v_cndmask_b32 v6, -1, v6, s[60:61]                 // LDD clip if OOB. offset
/* (d1,vc1,d0,vc0)=(3,1,0,1) */
_v_add_co_u32 v4, vcc, v0, 1                       // coord0.1: coord0 += d0*sg0*VW + vc0
v_cmp_lt_u32 s[56:57], v4, s[sgprSizeI]            // coord0 < size0
v_cmp_lt_u32 s[60:61], v1, s[sgprSizeJ]            // coord1 < size1
s_and_b64 s[60:61], s[56:57], s[60:61]             // in0 && in1
_v_add_lshl_u32 v7, v2, v4, 0x3                    // scaleToBpe: accumulate d0 lower and *= bpe into Cin addr
v_cndmask_b32 v7, -1, v7, s[60:61]                 // LDC clip if OOB. offset
_buffer_load_b64 v[12:13], v7, s[sgprSrdC:sgprSrdC+3], 0, offen offset:0,  nt // load C for beta calc
_v_add_lshl_u32 v7, v3, v4, 0x3                    // scaleToBpe: accumulate d0 lower and *= bpe into Cin addr
v_cndmask_b32 v7, -1, v7, s[60:61]                 // LDD clip if OOB. offset
/* (d1,vc1,d0,vc0)=(3,1,1,0) */
s_mov_b32 s56, 128                                 // coordOffset0 d0=1 vc0=0
_v_add_co_u32 v4, vcc, v0, s56                     // coord0.2: coord0 += d0*sg0*VW + vc0
v_cmp_lt_u32 s[56:57], v4, s[sgprSizeI]            // coord0 < size0
v_cmp_lt_u32 s[60:61], v1, s[sgprSizeJ]            // coord1 < size1
s_and_b64 s[60:61], s[56:57], s[60:61]             // in0 && in1
_v_add_lshl_u32 v16, v2, v4, 0x3                   // scaleToBpe: accumulate d0 lower and *= bpe into Cin addr
v_cndmask_b32 v16, -1, v16, s[60:61]               // LDC clip if OOB. offset
_buffer_load_b64 v[18:19], v16, s[sgprSrdC:sgprSrdC+3], 0, offen offset:0,  nt // load C for beta calc
_v_add_lshl_u32 v16, v3, v4, 0x3                   // scaleToBpe: accumulate d0 lower and *= bpe into Cin addr
v_cndmask_b32 v16, -1, v16, s[60:61]               // LDD clip if OOB. offset
/* (d1,vc1,d0,vc0)=(3,1,1,1) */
s_mov_b32 s56, 129                                 // coordOffset0 d0=1 vc0=1
_v_add_co_u32 v4, vcc, v0, s56                     // coord0.2: coord0 += d0*sg0*VW + vc0
v_cmp_lt_u32 s[56:57], v4, s[sgprSizeI]            // coord0 < size0
v_cmp_lt_u32 s[60:61], v1, s[sgprSizeJ]            // coord1 < size1
s_and_b64 s[60:61], s[56:57], s[60:61]             // in0 && in1
_v_add_lshl_u32 v17, v2, v4, 0x3                   // scaleToBpe: accumulate d0 lower and *= bpe into Cin addr
v_cndmask_b32 v17, -1, v17, s[60:61]               // LDC clip if OOB. offset
_buffer_load_b64 v[22:23], v17, s[sgprSrdC:sgprSrdC+3], 0, offen offset:0,  nt // load C for beta calc
_v_add_lshl_u32 v17, v3, v4, 0x3                   // scaleToBpe: accumulate d0 lower and *= bpe into Cin addr
v_cndmask_b32 v17, -1, v17, s[60:61]               // LDD clip if OOB. offset
s_sleep 3 // optimization: sync and wait
s_barrier
v_accvgpr_read_b32 v[vgprValuC+10], acc49 // copy acc to vreg[104]
v_accvgpr_read_b32 v[vgprValuC+11], acc161 // copy acc to vreg[105]
v_accvgpr_read_b32 v[vgprValuC+14], acc53 // copy acc to vreg[106]
v_accvgpr_read_b32 v[vgprValuC+15], acc165 // copy acc to vreg[107]
v_accvgpr_read_b32 v[vgprValuC+20], acc57 // copy acc to vreg[108]
v_accvgpr_read_b32 v[vgprValuC+21], acc169 // copy acc to vreg[109]
v_accvgpr_read_b32 v[vgprValuC+24], acc61 // copy acc to vreg[110]
v_accvgpr_read_b32 v[vgprValuC+25], acc173 // copy acc to vreg[111]
s_nop 1                                            // 2 wait states required before reading vgpr

/* rC *= alpha batchElements=[(3, 0, 1, 0), (3, 0, 1, 1), (3, 1, 1, 0), (3, 1, 1, 1)] */
v_mov_b32 v26, v[vgprValuC+10]                     // store Cr
v_mul_f32 v[vgprValuC+10], s[sgprAlpha], v[vgprValuC+10] // *= alpha ( Cr = Ar * Cr)
_v_mac_f32 v[vgprValuC+10], -s[sgprAlpha+1], v[vgprValuC+11] // *= alpha ( Cr += -Ai * Ci )
v_mul_f32 v[vgprValuC+11], s[sgprAlpha], v[vgprValuC+11] // *= alpha ( Ci = Ar * Ci)
_v_mac_f32 v[vgprValuC+11], s[sgprAlpha+1], v26    // *= alpha ( Ci += Ai * Cr_backup )
v_mov_b32 v26, v[vgprValuC+14]                     // store Cr
v_mul_f32 v[vgprValuC+14], s[sgprAlpha], v[vgprValuC+14] // *= alpha ( Cr = Ar * Cr)
_v_mac_f32 v[vgprValuC+14], -s[sgprAlpha+1], v[vgprValuC+15] // *= alpha ( Cr += -Ai * Ci )
v_mul_f32 v[vgprValuC+15], s[sgprAlpha], v[vgprValuC+15] // *= alpha ( Ci = Ar * Ci)
_v_mac_f32 v[vgprValuC+15], s[sgprAlpha+1], v26    // *= alpha ( Ci += Ai * Cr_backup )
	;; [unrolled: 5-line block ×4, first 2 shown]
s_waitcnt vmcnt(0)                                 // wait C

/* apply mask, calc new C and issue writes */
_v_mac_f32 v[vgprValuC+10], v8, s[sgprBeta]        // finalSum Cr += old Cr * Br
_v_mac_f32 v[vgprValuC+10], v9, -s[sgprBeta+1]     // finalSum Cr += old Ci * -Bi
_v_mac_f32 v[vgprValuC+11], v9, s[sgprBeta]        // finalSum Ci += old Ci * Br
_v_mac_f32 v[vgprValuC+11], v8, s[sgprBeta+1]      // finalSum Ci += old Cr * Bi
_buffer_store_b64 v[10:11], v6, s[sgprSrdD:sgprSrdD+3], 0, offen, offset:0,  nt // store D
_v_mac_f32 v[vgprValuC+14], v12, s[sgprBeta]       // finalSum Cr += old Cr * Br
_v_mac_f32 v[vgprValuC+14], v13, -s[sgprBeta+1]    // finalSum Cr += old Ci * -Bi
_v_mac_f32 v[vgprValuC+15], v13, s[sgprBeta]       // finalSum Ci += old Ci * Br
_v_mac_f32 v[vgprValuC+15], v12, s[sgprBeta+1]     // finalSum Ci += old Cr * Bi
_buffer_store_b64 v[14:15], v7, s[sgprSrdD:sgprSrdD+3], 0, offen, offset:0,  nt // store D
_v_mac_f32 v[vgprValuC+20], v18, s[sgprBeta]       // finalSum Cr += old Cr * Br
_v_mac_f32 v[vgprValuC+20], v19, -s[sgprBeta+1]    // finalSum Cr += old Ci * -Bi
_v_mac_f32 v[vgprValuC+21], v19, s[sgprBeta]       // finalSum Ci += old Ci * Br
_v_mac_f32 v[vgprValuC+21], v18, s[sgprBeta+1]     // finalSum Ci += old Cr * Bi
	;; [unrolled: 5-line block ×3, first 2 shown]
_buffer_store_b64 v[24:25], v17, s[sgprSrdD:sgprSrdD+3], 0, offen, offset:0,  nt // store D
s_nop 0                                            // 1 wait state required when next inst writes vgprs held by previous dwordx4 store inst
/* optSingleColVgpr=0 optSharedColVgpr=0 optSGPRUsage=BufferLoad_Edge_Mask optSrdIncForRow=0 */
s_sleep 3 // optimization: sync and wait
s_barrier

/******************************************/
/* Global Write Alpha Beta Edge Batch #14 (d1,d0,vc1,vc0) = */
/*    (3,0,2,0:vw1); (3,0,2,1:vw1); (3,1,2,0:vw1); (3,1,2,1:vw1) */
/******************************************/

/* calc coords, apply mask, and issue loads (if necessary) */
/* (d1,vc1,d0,vc0)=(3,2,0,0) */
_v_add_co_u32 v1, vcc, v1, 1                       // coord1.1: coord1Vgpr += d1*sg1*VW + vc1

/* Fix for UseInitialStridesCD, emitAddressSetupCode */
_v_add_u32 v2, v2, s[sgprStrideC1J]                // ROWINC- Move cinRowPtr to next row
_v_add_u32 v3, v3, s[sgprStrideD1J]                // Move coutRowPtr to next row
v_cmp_lt_u32 s[56:57], v0, s[sgprSizeI]            // coord0 < size0
v_cmp_lt_u32 s[60:61], v1, s[sgprSizeJ]            // coord1 < size1
s_and_b64 s[60:61], s[56:57], s[60:61]             // in0 && in1
_v_add_lshl_u32 v6, v2, v0, 0x3                    // scaleToBpe: accumulate d0 lower and *= bpe into Cin addr
v_cndmask_b32 v6, -1, v6, s[60:61]                 // LDC clip if OOB. offset
_buffer_load_b64 v[8:9], v6, s[sgprSrdC:sgprSrdC+3], 0, offen offset:0,  nt // load C for beta calc
_v_add_lshl_u32 v6, v3, v0, 0x3                    // scaleToBpe: accumulate d0 lower and *= bpe into Cin addr
v_cndmask_b32 v6, -1, v6, s[60:61]                 // LDD clip if OOB. offset
/* (d1,vc1,d0,vc0)=(3,2,0,1) */
_v_add_co_u32 v4, vcc, v0, 1                       // coord0.1: coord0 += d0*sg0*VW + vc0
v_cmp_lt_u32 s[56:57], v4, s[sgprSizeI]            // coord0 < size0
v_cmp_lt_u32 s[60:61], v1, s[sgprSizeJ]            // coord1 < size1
s_and_b64 s[60:61], s[56:57], s[60:61]             // in0 && in1
_v_add_lshl_u32 v7, v2, v4, 0x3                    // scaleToBpe: accumulate d0 lower and *= bpe into Cin addr
v_cndmask_b32 v7, -1, v7, s[60:61]                 // LDC clip if OOB. offset
_buffer_load_b64 v[12:13], v7, s[sgprSrdC:sgprSrdC+3], 0, offen offset:0,  nt // load C for beta calc
_v_add_lshl_u32 v7, v3, v4, 0x3                    // scaleToBpe: accumulate d0 lower and *= bpe into Cin addr
v_cndmask_b32 v7, -1, v7, s[60:61]                 // LDD clip if OOB. offset
/* (d1,vc1,d0,vc0)=(3,2,1,0) */
s_mov_b32 s56, 128                                 // coordOffset0 d0=1 vc0=0
_v_add_co_u32 v4, vcc, v0, s56                     // coord0.2: coord0 += d0*sg0*VW + vc0
v_cmp_lt_u32 s[56:57], v4, s[sgprSizeI]            // coord0 < size0
v_cmp_lt_u32 s[60:61], v1, s[sgprSizeJ]            // coord1 < size1
s_and_b64 s[60:61], s[56:57], s[60:61]             // in0 && in1
_v_add_lshl_u32 v16, v2, v4, 0x3                   // scaleToBpe: accumulate d0 lower and *= bpe into Cin addr
v_cndmask_b32 v16, -1, v16, s[60:61]               // LDC clip if OOB. offset
_buffer_load_b64 v[18:19], v16, s[sgprSrdC:sgprSrdC+3], 0, offen offset:0,  nt // load C for beta calc
_v_add_lshl_u32 v16, v3, v4, 0x3                   // scaleToBpe: accumulate d0 lower and *= bpe into Cin addr
v_cndmask_b32 v16, -1, v16, s[60:61]               // LDD clip if OOB. offset
/* (d1,vc1,d0,vc0)=(3,2,1,1) */
s_mov_b32 s56, 129                                 // coordOffset0 d0=1 vc0=1
_v_add_co_u32 v4, vcc, v0, s56                     // coord0.2: coord0 += d0*sg0*VW + vc0
v_cmp_lt_u32 s[56:57], v4, s[sgprSizeI]            // coord0 < size0
v_cmp_lt_u32 s[60:61], v1, s[sgprSizeJ]            // coord1 < size1
s_and_b64 s[60:61], s[56:57], s[60:61]             // in0 && in1
_v_add_lshl_u32 v17, v2, v4, 0x3                   // scaleToBpe: accumulate d0 lower and *= bpe into Cin addr
v_cndmask_b32 v17, -1, v17, s[60:61]               // LDC clip if OOB. offset
_buffer_load_b64 v[22:23], v17, s[sgprSrdC:sgprSrdC+3], 0, offen offset:0,  nt // load C for beta calc
_v_add_lshl_u32 v17, v3, v4, 0x3                   // scaleToBpe: accumulate d0 lower and *= bpe into Cin addr
v_cndmask_b32 v17, -1, v17, s[60:61]               // LDD clip if OOB. offset
s_sleep 3 // optimization: sync and wait
s_barrier
v_accvgpr_read_b32 v[vgprValuC+10], acc50 // copy acc to vreg[112]
v_accvgpr_read_b32 v[vgprValuC+11], acc162 // copy acc to vreg[113]
v_accvgpr_read_b32 v[vgprValuC+14], acc54 // copy acc to vreg[114]
v_accvgpr_read_b32 v[vgprValuC+15], acc166 // copy acc to vreg[115]
v_accvgpr_read_b32 v[vgprValuC+20], acc58 // copy acc to vreg[116]
v_accvgpr_read_b32 v[vgprValuC+21], acc170 // copy acc to vreg[117]
v_accvgpr_read_b32 v[vgprValuC+24], acc62 // copy acc to vreg[118]
v_accvgpr_read_b32 v[vgprValuC+25], acc174 // copy acc to vreg[119]
s_nop 1                                            // 2 wait states required before reading vgpr

/* rC *= alpha batchElements=[(3, 0, 2, 0), (3, 0, 2, 1), (3, 1, 2, 0), (3, 1, 2, 1)] */
v_mov_b32 v26, v[vgprValuC+10]                     // store Cr
v_mul_f32 v[vgprValuC+10], s[sgprAlpha], v[vgprValuC+10] // *= alpha ( Cr = Ar * Cr)
_v_mac_f32 v[vgprValuC+10], -s[sgprAlpha+1], v[vgprValuC+11] // *= alpha ( Cr += -Ai * Ci )
v_mul_f32 v[vgprValuC+11], s[sgprAlpha], v[vgprValuC+11] // *= alpha ( Ci = Ar * Ci)
_v_mac_f32 v[vgprValuC+11], s[sgprAlpha+1], v26    // *= alpha ( Ci += Ai * Cr_backup )
v_mov_b32 v26, v[vgprValuC+14]                     // store Cr
v_mul_f32 v[vgprValuC+14], s[sgprAlpha], v[vgprValuC+14] // *= alpha ( Cr = Ar * Cr)
_v_mac_f32 v[vgprValuC+14], -s[sgprAlpha+1], v[vgprValuC+15] // *= alpha ( Cr += -Ai * Ci )
v_mul_f32 v[vgprValuC+15], s[sgprAlpha], v[vgprValuC+15] // *= alpha ( Ci = Ar * Ci)
_v_mac_f32 v[vgprValuC+15], s[sgprAlpha+1], v26    // *= alpha ( Ci += Ai * Cr_backup )
	;; [unrolled: 5-line block ×4, first 2 shown]
s_waitcnt vmcnt(0)                                 // wait C

/* apply mask, calc new C and issue writes */
_v_mac_f32 v[vgprValuC+10], v8, s[sgprBeta]        // finalSum Cr += old Cr * Br
_v_mac_f32 v[vgprValuC+10], v9, -s[sgprBeta+1]     // finalSum Cr += old Ci * -Bi
_v_mac_f32 v[vgprValuC+11], v9, s[sgprBeta]        // finalSum Ci += old Ci * Br
_v_mac_f32 v[vgprValuC+11], v8, s[sgprBeta+1]      // finalSum Ci += old Cr * Bi
_buffer_store_b64 v[10:11], v6, s[sgprSrdD:sgprSrdD+3], 0, offen, offset:0,  nt // store D
_v_mac_f32 v[vgprValuC+14], v12, s[sgprBeta]       // finalSum Cr += old Cr * Br
_v_mac_f32 v[vgprValuC+14], v13, -s[sgprBeta+1]    // finalSum Cr += old Ci * -Bi
_v_mac_f32 v[vgprValuC+15], v13, s[sgprBeta]       // finalSum Ci += old Ci * Br
_v_mac_f32 v[vgprValuC+15], v12, s[sgprBeta+1]     // finalSum Ci += old Cr * Bi
_buffer_store_b64 v[14:15], v7, s[sgprSrdD:sgprSrdD+3], 0, offen, offset:0,  nt // store D
_v_mac_f32 v[vgprValuC+20], v18, s[sgprBeta]       // finalSum Cr += old Cr * Br
_v_mac_f32 v[vgprValuC+20], v19, -s[sgprBeta+1]    // finalSum Cr += old Ci * -Bi
_v_mac_f32 v[vgprValuC+21], v19, s[sgprBeta]       // finalSum Ci += old Ci * Br
_v_mac_f32 v[vgprValuC+21], v18, s[sgprBeta+1]     // finalSum Ci += old Cr * Bi
	;; [unrolled: 5-line block ×3, first 2 shown]
_buffer_store_b64 v[24:25], v17, s[sgprSrdD:sgprSrdD+3], 0, offen, offset:0,  nt // store D
s_nop 0                                            // 1 wait state required when next inst writes vgprs held by previous dwordx4 store inst
/* optSingleColVgpr=0 optSharedColVgpr=0 optSGPRUsage=BufferLoad_Edge_Mask optSrdIncForRow=0 */
s_sleep 3 // optimization: sync and wait
s_barrier

/******************************************/
/* Global Write Alpha Beta Edge Batch #15 (d1,d0,vc1,vc0) = */
/*    (3,0,3,0:vw1); (3,0,3,1:vw1); (3,1,3,0:vw1); (3,1,3,1:vw1) */
/******************************************/

/* calc coords, apply mask, and issue loads (if necessary) */
/* (d1,vc1,d0,vc0)=(3,3,0,0) */
_v_add_co_u32 v1, vcc, v1, 1                       // coord1.1: coord1Vgpr += d1*sg1*VW + vc1

/* Fix for UseInitialStridesCD, emitAddressSetupCode */
_v_add_u32 v2, v2, s[sgprStrideC1J]                // ROWINC- Move cinRowPtr to next row
_v_add_u32 v3, v3, s[sgprStrideD1J]                // Move coutRowPtr to next row
v_cmp_lt_u32 s[56:57], v0, s[sgprSizeI]            // coord0 < size0
v_cmp_lt_u32 s[60:61], v1, s[sgprSizeJ]            // coord1 < size1
s_and_b64 s[60:61], s[56:57], s[60:61]             // in0 && in1
_v_add_lshl_u32 v6, v2, v0, 0x3                    // scaleToBpe: accumulate d0 lower and *= bpe into Cin addr
v_cndmask_b32 v6, -1, v6, s[60:61]                 // LDC clip if OOB. offset
_buffer_load_b64 v[8:9], v6, s[sgprSrdC:sgprSrdC+3], 0, offen offset:0,  nt // load C for beta calc
_v_add_lshl_u32 v6, v3, v0, 0x3                    // scaleToBpe: accumulate d0 lower and *= bpe into Cin addr
v_cndmask_b32 v6, -1, v6, s[60:61]                 // LDD clip if OOB. offset
/* (d1,vc1,d0,vc0)=(3,3,0,1) */
_v_add_co_u32 v4, vcc, v0, 1                       // coord0.1: coord0 += d0*sg0*VW + vc0
v_cmp_lt_u32 s[56:57], v4, s[sgprSizeI]            // coord0 < size0
v_cmp_lt_u32 s[60:61], v1, s[sgprSizeJ]            // coord1 < size1
s_and_b64 s[60:61], s[56:57], s[60:61]             // in0 && in1
_v_add_lshl_u32 v7, v2, v4, 0x3                    // scaleToBpe: accumulate d0 lower and *= bpe into Cin addr
v_cndmask_b32 v7, -1, v7, s[60:61]                 // LDC clip if OOB. offset
_buffer_load_b64 v[12:13], v7, s[sgprSrdC:sgprSrdC+3], 0, offen offset:0,  nt // load C for beta calc
_v_add_lshl_u32 v7, v3, v4, 0x3                    // scaleToBpe: accumulate d0 lower and *= bpe into Cin addr
v_cndmask_b32 v7, -1, v7, s[60:61]                 // LDD clip if OOB. offset
/* (d1,vc1,d0,vc0)=(3,3,1,0) */
s_mov_b32 s56, 128                                 // coordOffset0 d0=1 vc0=0
_v_add_co_u32 v4, vcc, v0, s56                     // coord0.2: coord0 += d0*sg0*VW + vc0
v_cmp_lt_u32 s[56:57], v4, s[sgprSizeI]            // coord0 < size0
v_cmp_lt_u32 s[60:61], v1, s[sgprSizeJ]            // coord1 < size1
s_and_b64 s[60:61], s[56:57], s[60:61]             // in0 && in1
_v_add_lshl_u32 v16, v2, v4, 0x3                   // scaleToBpe: accumulate d0 lower and *= bpe into Cin addr
v_cndmask_b32 v16, -1, v16, s[60:61]               // LDC clip if OOB. offset
_buffer_load_b64 v[18:19], v16, s[sgprSrdC:sgprSrdC+3], 0, offen offset:0,  nt // load C for beta calc
_v_add_lshl_u32 v16, v3, v4, 0x3                   // scaleToBpe: accumulate d0 lower and *= bpe into Cin addr
v_cndmask_b32 v16, -1, v16, s[60:61]               // LDD clip if OOB. offset
/* (d1,vc1,d0,vc0)=(3,3,1,1) */
s_mov_b32 s56, 129                                 // coordOffset0 d0=1 vc0=1
_v_add_co_u32 v4, vcc, v0, s56                     // coord0.2: coord0 += d0*sg0*VW + vc0
v_cmp_lt_u32 s[56:57], v4, s[sgprSizeI]            // coord0 < size0
v_cmp_lt_u32 s[60:61], v1, s[sgprSizeJ]            // coord1 < size1
s_and_b64 s[60:61], s[56:57], s[60:61]             // in0 && in1
_v_add_lshl_u32 v17, v2, v4, 0x3                   // scaleToBpe: accumulate d0 lower and *= bpe into Cin addr
v_cndmask_b32 v17, -1, v17, s[60:61]               // LDC clip if OOB. offset
_buffer_load_b64 v[22:23], v17, s[sgprSrdC:sgprSrdC+3], 0, offen offset:0,  nt // load C for beta calc
_v_add_lshl_u32 v17, v3, v4, 0x3                   // scaleToBpe: accumulate d0 lower and *= bpe into Cin addr
v_cndmask_b32 v17, -1, v17, s[60:61]               // LDD clip if OOB. offset
s_sleep 3 // optimization: sync and wait
s_barrier
v_accvgpr_read_b32 v[vgprValuC+10], acc51 // copy acc to vreg[120]
v_accvgpr_read_b32 v[vgprValuC+11], acc163 // copy acc to vreg[121]
v_accvgpr_read_b32 v[vgprValuC+14], acc55 // copy acc to vreg[122]
v_accvgpr_read_b32 v[vgprValuC+15], acc167 // copy acc to vreg[123]
v_accvgpr_read_b32 v[vgprValuC+20], acc59 // copy acc to vreg[124]
v_accvgpr_read_b32 v[vgprValuC+21], acc171 // copy acc to vreg[125]
v_accvgpr_read_b32 v[vgprValuC+24], acc63 // copy acc to vreg[126]
v_accvgpr_read_b32 v[vgprValuC+25], acc175 // copy acc to vreg[127]
s_nop 1                                            // 2 wait states required before reading vgpr

/* rC *= alpha batchElements=[(3, 0, 3, 0), (3, 0, 3, 1), (3, 1, 3, 0), (3, 1, 3, 1)] */
v_mov_b32 v26, v[vgprValuC+10]                     // store Cr
v_mul_f32 v[vgprValuC+10], s[sgprAlpha], v[vgprValuC+10] // *= alpha ( Cr = Ar * Cr)
_v_mac_f32 v[vgprValuC+10], -s[sgprAlpha+1], v[vgprValuC+11] // *= alpha ( Cr += -Ai * Ci )
v_mul_f32 v[vgprValuC+11], s[sgprAlpha], v[vgprValuC+11] // *= alpha ( Ci = Ar * Ci)
_v_mac_f32 v[vgprValuC+11], s[sgprAlpha+1], v26    // *= alpha ( Ci += Ai * Cr_backup )
v_mov_b32 v26, v[vgprValuC+14]                     // store Cr
v_mul_f32 v[vgprValuC+14], s[sgprAlpha], v[vgprValuC+14] // *= alpha ( Cr = Ar * Cr)
_v_mac_f32 v[vgprValuC+14], -s[sgprAlpha+1], v[vgprValuC+15] // *= alpha ( Cr += -Ai * Ci )
v_mul_f32 v[vgprValuC+15], s[sgprAlpha], v[vgprValuC+15] // *= alpha ( Ci = Ar * Ci)
_v_mac_f32 v[vgprValuC+15], s[sgprAlpha+1], v26    // *= alpha ( Ci += Ai * Cr_backup )
	;; [unrolled: 5-line block ×4, first 2 shown]
s_waitcnt vmcnt(0)                                 // wait C

/* apply mask, calc new C and issue writes */
_v_mac_f32 v[vgprValuC+10], v8, s[sgprBeta]        // finalSum Cr += old Cr * Br
_v_mac_f32 v[vgprValuC+10], v9, -s[sgprBeta+1]     // finalSum Cr += old Ci * -Bi
_v_mac_f32 v[vgprValuC+11], v9, s[sgprBeta]        // finalSum Ci += old Ci * Br
_v_mac_f32 v[vgprValuC+11], v8, s[sgprBeta+1]      // finalSum Ci += old Cr * Bi
_buffer_store_b64 v[10:11], v6, s[sgprSrdD:sgprSrdD+3], 0, offen, offset:0,  nt // store D
_v_mac_f32 v[vgprValuC+14], v12, s[sgprBeta]       // finalSum Cr += old Cr * Br
_v_mac_f32 v[vgprValuC+14], v13, -s[sgprBeta+1]    // finalSum Cr += old Ci * -Bi
_v_mac_f32 v[vgprValuC+15], v13, s[sgprBeta]       // finalSum Ci += old Ci * Br
_v_mac_f32 v[vgprValuC+15], v12, s[sgprBeta+1]     // finalSum Ci += old Cr * Bi
_buffer_store_b64 v[14:15], v7, s[sgprSrdD:sgprSrdD+3], 0, offen, offset:0,  nt // store D
_v_mac_f32 v[vgprValuC+20], v18, s[sgprBeta]       // finalSum Cr += old Cr * Br
_v_mac_f32 v[vgprValuC+20], v19, -s[sgprBeta+1]    // finalSum Cr += old Ci * -Bi
_v_mac_f32 v[vgprValuC+21], v19, s[sgprBeta]       // finalSum Ci += old Ci * Br
_v_mac_f32 v[vgprValuC+21], v18, s[sgprBeta+1]     // finalSum Ci += old Cr * Bi
	;; [unrolled: 5-line block ×3, first 2 shown]
_buffer_store_b64 v[24:25], v17, s[sgprSrdD:sgprSrdD+3], 0, offen, offset:0,  nt // store D
s_nop 0                                            // 1 wait state required when next inst writes vgprs held by previous dwordx4 store inst
/* optSingleColVgpr=0 optSharedColVgpr=0 optSGPRUsage=BufferLoad_Edge_Mask optSrdIncForRow=0 */
s_sleep 3 // optimization: sync and wait
s_barrier

/******************************************/
/* Global Write Alpha Beta Edge Batch #16 (d1,d0,vc1,vc0) = */
/*    (4,0,0,0:vw1); (4,0,0,1:vw1); (4,1,0,0:vw1); (4,1,0,1:vw1) */
/******************************************/

/* calc coords, apply mask, and issue loads (if necessary) */
/* (d1,vc1,d0,vc0)=(4,0,0,0) */
_v_add_co_u32 v1, vcc, v1, 13                      // coord1.1: coord1Vgpr += d1*sg1*VW + vc1

/* Fix for UseInitialStridesCD, emitAddressSetupCode */
s_mul_i32 s56, s[sgprStrideC1J], 13                // scale stride
_v_add_u32 v2, v2, s56                             // ROWINC- Move cinRowPtr to next row
s_mul_i32 s56, s[sgprStrideD1J], 13                // scale stride
_v_add_u32 v3, v3, s56                             // Move coutRowPtr to next row
v_cmp_lt_u32 s[56:57], v0, s[sgprSizeI]            // coord0 < size0
v_cmp_lt_u32 s[60:61], v1, s[sgprSizeJ]            // coord1 < size1
s_and_b64 s[60:61], s[56:57], s[60:61]             // in0 && in1
_v_add_lshl_u32 v6, v2, v0, 0x3                    // scaleToBpe: accumulate d0 lower and *= bpe into Cin addr
v_cndmask_b32 v6, -1, v6, s[60:61]                 // LDC clip if OOB. offset
_buffer_load_b64 v[8:9], v6, s[sgprSrdC:sgprSrdC+3], 0, offen offset:0,  nt // load C for beta calc
_v_add_lshl_u32 v6, v3, v0, 0x3                    // scaleToBpe: accumulate d0 lower and *= bpe into Cin addr
v_cndmask_b32 v6, -1, v6, s[60:61]                 // LDD clip if OOB. offset
/* (d1,vc1,d0,vc0)=(4,0,0,1) */
_v_add_co_u32 v4, vcc, v0, 1                       // coord0.1: coord0 += d0*sg0*VW + vc0
v_cmp_lt_u32 s[56:57], v4, s[sgprSizeI]            // coord0 < size0
v_cmp_lt_u32 s[60:61], v1, s[sgprSizeJ]            // coord1 < size1
s_and_b64 s[60:61], s[56:57], s[60:61]             // in0 && in1
_v_add_lshl_u32 v7, v2, v4, 0x3                    // scaleToBpe: accumulate d0 lower and *= bpe into Cin addr
v_cndmask_b32 v7, -1, v7, s[60:61]                 // LDC clip if OOB. offset
_buffer_load_b64 v[12:13], v7, s[sgprSrdC:sgprSrdC+3], 0, offen offset:0,  nt // load C for beta calc
_v_add_lshl_u32 v7, v3, v4, 0x3                    // scaleToBpe: accumulate d0 lower and *= bpe into Cin addr
v_cndmask_b32 v7, -1, v7, s[60:61]                 // LDD clip if OOB. offset
/* (d1,vc1,d0,vc0)=(4,0,1,0) */
s_mov_b32 s56, 128                                 // coordOffset0 d0=1 vc0=0
_v_add_co_u32 v4, vcc, v0, s56                     // coord0.2: coord0 += d0*sg0*VW + vc0
v_cmp_lt_u32 s[56:57], v4, s[sgprSizeI]            // coord0 < size0
v_cmp_lt_u32 s[60:61], v1, s[sgprSizeJ]            // coord1 < size1
s_and_b64 s[60:61], s[56:57], s[60:61]             // in0 && in1
_v_add_lshl_u32 v16, v2, v4, 0x3                   // scaleToBpe: accumulate d0 lower and *= bpe into Cin addr
v_cndmask_b32 v16, -1, v16, s[60:61]               // LDC clip if OOB. offset
_buffer_load_b64 v[18:19], v16, s[sgprSrdC:sgprSrdC+3], 0, offen offset:0,  nt // load C for beta calc
_v_add_lshl_u32 v16, v3, v4, 0x3                   // scaleToBpe: accumulate d0 lower and *= bpe into Cin addr
v_cndmask_b32 v16, -1, v16, s[60:61]               // LDD clip if OOB. offset
/* (d1,vc1,d0,vc0)=(4,0,1,1) */
s_mov_b32 s56, 129                                 // coordOffset0 d0=1 vc0=1
_v_add_co_u32 v4, vcc, v0, s56                     // coord0.2: coord0 += d0*sg0*VW + vc0
v_cmp_lt_u32 s[56:57], v4, s[sgprSizeI]            // coord0 < size0
v_cmp_lt_u32 s[60:61], v1, s[sgprSizeJ]            // coord1 < size1
s_and_b64 s[60:61], s[56:57], s[60:61]             // in0 && in1
_v_add_lshl_u32 v17, v2, v4, 0x3                   // scaleToBpe: accumulate d0 lower and *= bpe into Cin addr
v_cndmask_b32 v17, -1, v17, s[60:61]               // LDC clip if OOB. offset
_buffer_load_b64 v[22:23], v17, s[sgprSrdC:sgprSrdC+3], 0, offen offset:0,  nt // load C for beta calc
_v_add_lshl_u32 v17, v3, v4, 0x3                   // scaleToBpe: accumulate d0 lower and *= bpe into Cin addr
v_cndmask_b32 v17, -1, v17, s[60:61]               // LDD clip if OOB. offset
s_sleep 3 // optimization: sync and wait
s_barrier
v_accvgpr_read_b32 v[vgprValuC+10], acc64 // copy acc to vreg[128]
v_accvgpr_read_b32 v[vgprValuC+11], acc176 // copy acc to vreg[129]
v_accvgpr_read_b32 v[vgprValuC+14], acc68 // copy acc to vreg[130]
v_accvgpr_read_b32 v[vgprValuC+15], acc180 // copy acc to vreg[131]
v_accvgpr_read_b32 v[vgprValuC+20], acc72 // copy acc to vreg[132]
v_accvgpr_read_b32 v[vgprValuC+21], acc184 // copy acc to vreg[133]
v_accvgpr_read_b32 v[vgprValuC+24], acc76 // copy acc to vreg[134]
v_accvgpr_read_b32 v[vgprValuC+25], acc188 // copy acc to vreg[135]
s_nop 1                                            // 2 wait states required before reading vgpr

/* rC *= alpha batchElements=[(4, 0, 0, 0), (4, 0, 0, 1), (4, 1, 0, 0), (4, 1, 0, 1)] */
v_mov_b32 v26, v[vgprValuC+10]                     // store Cr
v_mul_f32 v[vgprValuC+10], s[sgprAlpha], v[vgprValuC+10] // *= alpha ( Cr = Ar * Cr)
_v_mac_f32 v[vgprValuC+10], -s[sgprAlpha+1], v[vgprValuC+11] // *= alpha ( Cr += -Ai * Ci )
v_mul_f32 v[vgprValuC+11], s[sgprAlpha], v[vgprValuC+11] // *= alpha ( Ci = Ar * Ci)
_v_mac_f32 v[vgprValuC+11], s[sgprAlpha+1], v26    // *= alpha ( Ci += Ai * Cr_backup )
v_mov_b32 v26, v[vgprValuC+14]                     // store Cr
v_mul_f32 v[vgprValuC+14], s[sgprAlpha], v[vgprValuC+14] // *= alpha ( Cr = Ar * Cr)
_v_mac_f32 v[vgprValuC+14], -s[sgprAlpha+1], v[vgprValuC+15] // *= alpha ( Cr += -Ai * Ci )
v_mul_f32 v[vgprValuC+15], s[sgprAlpha], v[vgprValuC+15] // *= alpha ( Ci = Ar * Ci)
_v_mac_f32 v[vgprValuC+15], s[sgprAlpha+1], v26    // *= alpha ( Ci += Ai * Cr_backup )
	;; [unrolled: 5-line block ×4, first 2 shown]
s_waitcnt vmcnt(0)                                 // wait C

/* apply mask, calc new C and issue writes */
_v_mac_f32 v[vgprValuC+10], v8, s[sgprBeta]        // finalSum Cr += old Cr * Br
_v_mac_f32 v[vgprValuC+10], v9, -s[sgprBeta+1]     // finalSum Cr += old Ci * -Bi
_v_mac_f32 v[vgprValuC+11], v9, s[sgprBeta]        // finalSum Ci += old Ci * Br
_v_mac_f32 v[vgprValuC+11], v8, s[sgprBeta+1]      // finalSum Ci += old Cr * Bi
_buffer_store_b64 v[10:11], v6, s[sgprSrdD:sgprSrdD+3], 0, offen, offset:0,  nt // store D
_v_mac_f32 v[vgprValuC+14], v12, s[sgprBeta]       // finalSum Cr += old Cr * Br
_v_mac_f32 v[vgprValuC+14], v13, -s[sgprBeta+1]    // finalSum Cr += old Ci * -Bi
_v_mac_f32 v[vgprValuC+15], v13, s[sgprBeta]       // finalSum Ci += old Ci * Br
_v_mac_f32 v[vgprValuC+15], v12, s[sgprBeta+1]     // finalSum Ci += old Cr * Bi
_buffer_store_b64 v[14:15], v7, s[sgprSrdD:sgprSrdD+3], 0, offen, offset:0,  nt // store D
_v_mac_f32 v[vgprValuC+20], v18, s[sgprBeta]       // finalSum Cr += old Cr * Br
_v_mac_f32 v[vgprValuC+20], v19, -s[sgprBeta+1]    // finalSum Cr += old Ci * -Bi
_v_mac_f32 v[vgprValuC+21], v19, s[sgprBeta]       // finalSum Ci += old Ci * Br
_v_mac_f32 v[vgprValuC+21], v18, s[sgprBeta+1]     // finalSum Ci += old Cr * Bi
	;; [unrolled: 5-line block ×3, first 2 shown]
_buffer_store_b64 v[24:25], v17, s[sgprSrdD:sgprSrdD+3], 0, offen, offset:0,  nt // store D
s_nop 0                                            // 1 wait state required when next inst writes vgprs held by previous dwordx4 store inst
/* optSingleColVgpr=0 optSharedColVgpr=0 optSGPRUsage=BufferLoad_Edge_Mask optSrdIncForRow=0 */
s_sleep 3 // optimization: sync and wait
s_barrier

/******************************************/
/* Global Write Alpha Beta Edge Batch #17 (d1,d0,vc1,vc0) = */
/*    (4,0,1,0:vw1); (4,0,1,1:vw1); (4,1,1,0:vw1); (4,1,1,1:vw1) */
/******************************************/

/* calc coords, apply mask, and issue loads (if necessary) */
/* (d1,vc1,d0,vc0)=(4,1,0,0) */
_v_add_co_u32 v1, vcc, v1, 1                       // coord1.1: coord1Vgpr += d1*sg1*VW + vc1

/* Fix for UseInitialStridesCD, emitAddressSetupCode */
_v_add_u32 v2, v2, s[sgprStrideC1J]                // ROWINC- Move cinRowPtr to next row
_v_add_u32 v3, v3, s[sgprStrideD1J]                // Move coutRowPtr to next row
v_cmp_lt_u32 s[56:57], v0, s[sgprSizeI]            // coord0 < size0
v_cmp_lt_u32 s[60:61], v1, s[sgprSizeJ]            // coord1 < size1
s_and_b64 s[60:61], s[56:57], s[60:61]             // in0 && in1
_v_add_lshl_u32 v6, v2, v0, 0x3                    // scaleToBpe: accumulate d0 lower and *= bpe into Cin addr
v_cndmask_b32 v6, -1, v6, s[60:61]                 // LDC clip if OOB. offset
_buffer_load_b64 v[8:9], v6, s[sgprSrdC:sgprSrdC+3], 0, offen offset:0,  nt // load C for beta calc
_v_add_lshl_u32 v6, v3, v0, 0x3                    // scaleToBpe: accumulate d0 lower and *= bpe into Cin addr
v_cndmask_b32 v6, -1, v6, s[60:61]                 // LDD clip if OOB. offset
/* (d1,vc1,d0,vc0)=(4,1,0,1) */
_v_add_co_u32 v4, vcc, v0, 1                       // coord0.1: coord0 += d0*sg0*VW + vc0
v_cmp_lt_u32 s[56:57], v4, s[sgprSizeI]            // coord0 < size0
v_cmp_lt_u32 s[60:61], v1, s[sgprSizeJ]            // coord1 < size1
s_and_b64 s[60:61], s[56:57], s[60:61]             // in0 && in1
_v_add_lshl_u32 v7, v2, v4, 0x3                    // scaleToBpe: accumulate d0 lower and *= bpe into Cin addr
v_cndmask_b32 v7, -1, v7, s[60:61]                 // LDC clip if OOB. offset
_buffer_load_b64 v[12:13], v7, s[sgprSrdC:sgprSrdC+3], 0, offen offset:0,  nt // load C for beta calc
_v_add_lshl_u32 v7, v3, v4, 0x3                    // scaleToBpe: accumulate d0 lower and *= bpe into Cin addr
v_cndmask_b32 v7, -1, v7, s[60:61]                 // LDD clip if OOB. offset
/* (d1,vc1,d0,vc0)=(4,1,1,0) */
s_mov_b32 s56, 128                                 // coordOffset0 d0=1 vc0=0
_v_add_co_u32 v4, vcc, v0, s56                     // coord0.2: coord0 += d0*sg0*VW + vc0
v_cmp_lt_u32 s[56:57], v4, s[sgprSizeI]            // coord0 < size0
v_cmp_lt_u32 s[60:61], v1, s[sgprSizeJ]            // coord1 < size1
s_and_b64 s[60:61], s[56:57], s[60:61]             // in0 && in1
_v_add_lshl_u32 v16, v2, v4, 0x3                   // scaleToBpe: accumulate d0 lower and *= bpe into Cin addr
v_cndmask_b32 v16, -1, v16, s[60:61]               // LDC clip if OOB. offset
_buffer_load_b64 v[18:19], v16, s[sgprSrdC:sgprSrdC+3], 0, offen offset:0,  nt // load C for beta calc
_v_add_lshl_u32 v16, v3, v4, 0x3                   // scaleToBpe: accumulate d0 lower and *= bpe into Cin addr
v_cndmask_b32 v16, -1, v16, s[60:61]               // LDD clip if OOB. offset
/* (d1,vc1,d0,vc0)=(4,1,1,1) */
s_mov_b32 s56, 129                                 // coordOffset0 d0=1 vc0=1
_v_add_co_u32 v4, vcc, v0, s56                     // coord0.2: coord0 += d0*sg0*VW + vc0
v_cmp_lt_u32 s[56:57], v4, s[sgprSizeI]            // coord0 < size0
v_cmp_lt_u32 s[60:61], v1, s[sgprSizeJ]            // coord1 < size1
s_and_b64 s[60:61], s[56:57], s[60:61]             // in0 && in1
_v_add_lshl_u32 v17, v2, v4, 0x3                   // scaleToBpe: accumulate d0 lower and *= bpe into Cin addr
v_cndmask_b32 v17, -1, v17, s[60:61]               // LDC clip if OOB. offset
_buffer_load_b64 v[22:23], v17, s[sgprSrdC:sgprSrdC+3], 0, offen offset:0,  nt // load C for beta calc
_v_add_lshl_u32 v17, v3, v4, 0x3                   // scaleToBpe: accumulate d0 lower and *= bpe into Cin addr
v_cndmask_b32 v17, -1, v17, s[60:61]               // LDD clip if OOB. offset
s_sleep 3 // optimization: sync and wait
s_barrier
v_accvgpr_read_b32 v[vgprValuC+10], acc65 // copy acc to vreg[136]
v_accvgpr_read_b32 v[vgprValuC+11], acc177 // copy acc to vreg[137]
v_accvgpr_read_b32 v[vgprValuC+14], acc69 // copy acc to vreg[138]
v_accvgpr_read_b32 v[vgprValuC+15], acc181 // copy acc to vreg[139]
v_accvgpr_read_b32 v[vgprValuC+20], acc73 // copy acc to vreg[140]
v_accvgpr_read_b32 v[vgprValuC+21], acc185 // copy acc to vreg[141]
v_accvgpr_read_b32 v[vgprValuC+24], acc77 // copy acc to vreg[142]
v_accvgpr_read_b32 v[vgprValuC+25], acc189 // copy acc to vreg[143]
s_nop 1                                            // 2 wait states required before reading vgpr

/* rC *= alpha batchElements=[(4, 0, 1, 0), (4, 0, 1, 1), (4, 1, 1, 0), (4, 1, 1, 1)] */
v_mov_b32 v26, v[vgprValuC+10]                     // store Cr
v_mul_f32 v[vgprValuC+10], s[sgprAlpha], v[vgprValuC+10] // *= alpha ( Cr = Ar * Cr)
_v_mac_f32 v[vgprValuC+10], -s[sgprAlpha+1], v[vgprValuC+11] // *= alpha ( Cr += -Ai * Ci )
v_mul_f32 v[vgprValuC+11], s[sgprAlpha], v[vgprValuC+11] // *= alpha ( Ci = Ar * Ci)
_v_mac_f32 v[vgprValuC+11], s[sgprAlpha+1], v26    // *= alpha ( Ci += Ai * Cr_backup )
v_mov_b32 v26, v[vgprValuC+14]                     // store Cr
v_mul_f32 v[vgprValuC+14], s[sgprAlpha], v[vgprValuC+14] // *= alpha ( Cr = Ar * Cr)
_v_mac_f32 v[vgprValuC+14], -s[sgprAlpha+1], v[vgprValuC+15] // *= alpha ( Cr += -Ai * Ci )
v_mul_f32 v[vgprValuC+15], s[sgprAlpha], v[vgprValuC+15] // *= alpha ( Ci = Ar * Ci)
_v_mac_f32 v[vgprValuC+15], s[sgprAlpha+1], v26    // *= alpha ( Ci += Ai * Cr_backup )
	;; [unrolled: 5-line block ×4, first 2 shown]
s_waitcnt vmcnt(0)                                 // wait C

/* apply mask, calc new C and issue writes */
_v_mac_f32 v[vgprValuC+10], v8, s[sgprBeta]        // finalSum Cr += old Cr * Br
_v_mac_f32 v[vgprValuC+10], v9, -s[sgprBeta+1]     // finalSum Cr += old Ci * -Bi
_v_mac_f32 v[vgprValuC+11], v9, s[sgprBeta]        // finalSum Ci += old Ci * Br
_v_mac_f32 v[vgprValuC+11], v8, s[sgprBeta+1]      // finalSum Ci += old Cr * Bi
_buffer_store_b64 v[10:11], v6, s[sgprSrdD:sgprSrdD+3], 0, offen, offset:0,  nt // store D
_v_mac_f32 v[vgprValuC+14], v12, s[sgprBeta]       // finalSum Cr += old Cr * Br
_v_mac_f32 v[vgprValuC+14], v13, -s[sgprBeta+1]    // finalSum Cr += old Ci * -Bi
_v_mac_f32 v[vgprValuC+15], v13, s[sgprBeta]       // finalSum Ci += old Ci * Br
_v_mac_f32 v[vgprValuC+15], v12, s[sgprBeta+1]     // finalSum Ci += old Cr * Bi
_buffer_store_b64 v[14:15], v7, s[sgprSrdD:sgprSrdD+3], 0, offen, offset:0,  nt // store D
_v_mac_f32 v[vgprValuC+20], v18, s[sgprBeta]       // finalSum Cr += old Cr * Br
_v_mac_f32 v[vgprValuC+20], v19, -s[sgprBeta+1]    // finalSum Cr += old Ci * -Bi
_v_mac_f32 v[vgprValuC+21], v19, s[sgprBeta]       // finalSum Ci += old Ci * Br
_v_mac_f32 v[vgprValuC+21], v18, s[sgprBeta+1]     // finalSum Ci += old Cr * Bi
	;; [unrolled: 5-line block ×3, first 2 shown]
_buffer_store_b64 v[24:25], v17, s[sgprSrdD:sgprSrdD+3], 0, offen, offset:0,  nt // store D
s_nop 0                                            // 1 wait state required when next inst writes vgprs held by previous dwordx4 store inst
/* optSingleColVgpr=0 optSharedColVgpr=0 optSGPRUsage=BufferLoad_Edge_Mask optSrdIncForRow=0 */
s_sleep 3 // optimization: sync and wait
s_barrier

/******************************************/
/* Global Write Alpha Beta Edge Batch #18 (d1,d0,vc1,vc0) = */
/*    (4,0,2,0:vw1); (4,0,2,1:vw1); (4,1,2,0:vw1); (4,1,2,1:vw1) */
/******************************************/

/* calc coords, apply mask, and issue loads (if necessary) */
/* (d1,vc1,d0,vc0)=(4,2,0,0) */
_v_add_co_u32 v1, vcc, v1, 1                       // coord1.1: coord1Vgpr += d1*sg1*VW + vc1

/* Fix for UseInitialStridesCD, emitAddressSetupCode */
_v_add_u32 v2, v2, s[sgprStrideC1J]                // ROWINC- Move cinRowPtr to next row
_v_add_u32 v3, v3, s[sgprStrideD1J]                // Move coutRowPtr to next row
v_cmp_lt_u32 s[56:57], v0, s[sgprSizeI]            // coord0 < size0
v_cmp_lt_u32 s[60:61], v1, s[sgprSizeJ]            // coord1 < size1
s_and_b64 s[60:61], s[56:57], s[60:61]             // in0 && in1
_v_add_lshl_u32 v6, v2, v0, 0x3                    // scaleToBpe: accumulate d0 lower and *= bpe into Cin addr
v_cndmask_b32 v6, -1, v6, s[60:61]                 // LDC clip if OOB. offset
_buffer_load_b64 v[8:9], v6, s[sgprSrdC:sgprSrdC+3], 0, offen offset:0,  nt // load C for beta calc
_v_add_lshl_u32 v6, v3, v0, 0x3                    // scaleToBpe: accumulate d0 lower and *= bpe into Cin addr
v_cndmask_b32 v6, -1, v6, s[60:61]                 // LDD clip if OOB. offset
/* (d1,vc1,d0,vc0)=(4,2,0,1) */
_v_add_co_u32 v4, vcc, v0, 1                       // coord0.1: coord0 += d0*sg0*VW + vc0
v_cmp_lt_u32 s[56:57], v4, s[sgprSizeI]            // coord0 < size0
v_cmp_lt_u32 s[60:61], v1, s[sgprSizeJ]            // coord1 < size1
s_and_b64 s[60:61], s[56:57], s[60:61]             // in0 && in1
_v_add_lshl_u32 v7, v2, v4, 0x3                    // scaleToBpe: accumulate d0 lower and *= bpe into Cin addr
v_cndmask_b32 v7, -1, v7, s[60:61]                 // LDC clip if OOB. offset
_buffer_load_b64 v[12:13], v7, s[sgprSrdC:sgprSrdC+3], 0, offen offset:0,  nt // load C for beta calc
_v_add_lshl_u32 v7, v3, v4, 0x3                    // scaleToBpe: accumulate d0 lower and *= bpe into Cin addr
v_cndmask_b32 v7, -1, v7, s[60:61]                 // LDD clip if OOB. offset
/* (d1,vc1,d0,vc0)=(4,2,1,0) */
s_mov_b32 s56, 128                                 // coordOffset0 d0=1 vc0=0
_v_add_co_u32 v4, vcc, v0, s56                     // coord0.2: coord0 += d0*sg0*VW + vc0
v_cmp_lt_u32 s[56:57], v4, s[sgprSizeI]            // coord0 < size0
v_cmp_lt_u32 s[60:61], v1, s[sgprSizeJ]            // coord1 < size1
s_and_b64 s[60:61], s[56:57], s[60:61]             // in0 && in1
_v_add_lshl_u32 v16, v2, v4, 0x3                   // scaleToBpe: accumulate d0 lower and *= bpe into Cin addr
v_cndmask_b32 v16, -1, v16, s[60:61]               // LDC clip if OOB. offset
_buffer_load_b64 v[18:19], v16, s[sgprSrdC:sgprSrdC+3], 0, offen offset:0,  nt // load C for beta calc
_v_add_lshl_u32 v16, v3, v4, 0x3                   // scaleToBpe: accumulate d0 lower and *= bpe into Cin addr
v_cndmask_b32 v16, -1, v16, s[60:61]               // LDD clip if OOB. offset
/* (d1,vc1,d0,vc0)=(4,2,1,1) */
s_mov_b32 s56, 129                                 // coordOffset0 d0=1 vc0=1
_v_add_co_u32 v4, vcc, v0, s56                     // coord0.2: coord0 += d0*sg0*VW + vc0
v_cmp_lt_u32 s[56:57], v4, s[sgprSizeI]            // coord0 < size0
v_cmp_lt_u32 s[60:61], v1, s[sgprSizeJ]            // coord1 < size1
s_and_b64 s[60:61], s[56:57], s[60:61]             // in0 && in1
_v_add_lshl_u32 v17, v2, v4, 0x3                   // scaleToBpe: accumulate d0 lower and *= bpe into Cin addr
v_cndmask_b32 v17, -1, v17, s[60:61]               // LDC clip if OOB. offset
_buffer_load_b64 v[22:23], v17, s[sgprSrdC:sgprSrdC+3], 0, offen offset:0,  nt // load C for beta calc
_v_add_lshl_u32 v17, v3, v4, 0x3                   // scaleToBpe: accumulate d0 lower and *= bpe into Cin addr
v_cndmask_b32 v17, -1, v17, s[60:61]               // LDD clip if OOB. offset
s_sleep 3 // optimization: sync and wait
s_barrier
v_accvgpr_read_b32 v[vgprValuC+10], acc66 // copy acc to vreg[144]
v_accvgpr_read_b32 v[vgprValuC+11], acc178 // copy acc to vreg[145]
v_accvgpr_read_b32 v[vgprValuC+14], acc70 // copy acc to vreg[146]
v_accvgpr_read_b32 v[vgprValuC+15], acc182 // copy acc to vreg[147]
v_accvgpr_read_b32 v[vgprValuC+20], acc74 // copy acc to vreg[148]
v_accvgpr_read_b32 v[vgprValuC+21], acc186 // copy acc to vreg[149]
v_accvgpr_read_b32 v[vgprValuC+24], acc78 // copy acc to vreg[150]
v_accvgpr_read_b32 v[vgprValuC+25], acc190 // copy acc to vreg[151]
s_nop 1                                            // 2 wait states required before reading vgpr

/* rC *= alpha batchElements=[(4, 0, 2, 0), (4, 0, 2, 1), (4, 1, 2, 0), (4, 1, 2, 1)] */
v_mov_b32 v26, v[vgprValuC+10]                     // store Cr
v_mul_f32 v[vgprValuC+10], s[sgprAlpha], v[vgprValuC+10] // *= alpha ( Cr = Ar * Cr)
_v_mac_f32 v[vgprValuC+10], -s[sgprAlpha+1], v[vgprValuC+11] // *= alpha ( Cr += -Ai * Ci )
v_mul_f32 v[vgprValuC+11], s[sgprAlpha], v[vgprValuC+11] // *= alpha ( Ci = Ar * Ci)
_v_mac_f32 v[vgprValuC+11], s[sgprAlpha+1], v26    // *= alpha ( Ci += Ai * Cr_backup )
v_mov_b32 v26, v[vgprValuC+14]                     // store Cr
v_mul_f32 v[vgprValuC+14], s[sgprAlpha], v[vgprValuC+14] // *= alpha ( Cr = Ar * Cr)
_v_mac_f32 v[vgprValuC+14], -s[sgprAlpha+1], v[vgprValuC+15] // *= alpha ( Cr += -Ai * Ci )
v_mul_f32 v[vgprValuC+15], s[sgprAlpha], v[vgprValuC+15] // *= alpha ( Ci = Ar * Ci)
_v_mac_f32 v[vgprValuC+15], s[sgprAlpha+1], v26    // *= alpha ( Ci += Ai * Cr_backup )
	;; [unrolled: 5-line block ×4, first 2 shown]
s_waitcnt vmcnt(0)                                 // wait C

/* apply mask, calc new C and issue writes */
_v_mac_f32 v[vgprValuC+10], v8, s[sgprBeta]        // finalSum Cr += old Cr * Br
_v_mac_f32 v[vgprValuC+10], v9, -s[sgprBeta+1]     // finalSum Cr += old Ci * -Bi
_v_mac_f32 v[vgprValuC+11], v9, s[sgprBeta]        // finalSum Ci += old Ci * Br
_v_mac_f32 v[vgprValuC+11], v8, s[sgprBeta+1]      // finalSum Ci += old Cr * Bi
_buffer_store_b64 v[10:11], v6, s[sgprSrdD:sgprSrdD+3], 0, offen, offset:0,  nt // store D
_v_mac_f32 v[vgprValuC+14], v12, s[sgprBeta]       // finalSum Cr += old Cr * Br
_v_mac_f32 v[vgprValuC+14], v13, -s[sgprBeta+1]    // finalSum Cr += old Ci * -Bi
_v_mac_f32 v[vgprValuC+15], v13, s[sgprBeta]       // finalSum Ci += old Ci * Br
_v_mac_f32 v[vgprValuC+15], v12, s[sgprBeta+1]     // finalSum Ci += old Cr * Bi
_buffer_store_b64 v[14:15], v7, s[sgprSrdD:sgprSrdD+3], 0, offen, offset:0,  nt // store D
_v_mac_f32 v[vgprValuC+20], v18, s[sgprBeta]       // finalSum Cr += old Cr * Br
_v_mac_f32 v[vgprValuC+20], v19, -s[sgprBeta+1]    // finalSum Cr += old Ci * -Bi
_v_mac_f32 v[vgprValuC+21], v19, s[sgprBeta]       // finalSum Ci += old Ci * Br
_v_mac_f32 v[vgprValuC+21], v18, s[sgprBeta+1]     // finalSum Ci += old Cr * Bi
	;; [unrolled: 5-line block ×3, first 2 shown]
_buffer_store_b64 v[24:25], v17, s[sgprSrdD:sgprSrdD+3], 0, offen, offset:0,  nt // store D
s_nop 0                                            // 1 wait state required when next inst writes vgprs held by previous dwordx4 store inst
/* optSingleColVgpr=0 optSharedColVgpr=0 optSGPRUsage=BufferLoad_Edge_Mask optSrdIncForRow=0 */
s_sleep 3 // optimization: sync and wait
s_barrier

/******************************************/
/* Global Write Alpha Beta Edge Batch #19 (d1,d0,vc1,vc0) = */
/*    (4,0,3,0:vw1); (4,0,3,1:vw1); (4,1,3,0:vw1); (4,1,3,1:vw1) */
/******************************************/

/* calc coords, apply mask, and issue loads (if necessary) */
/* (d1,vc1,d0,vc0)=(4,3,0,0) */
_v_add_co_u32 v1, vcc, v1, 1                       // coord1.1: coord1Vgpr += d1*sg1*VW + vc1

/* Fix for UseInitialStridesCD, emitAddressSetupCode */
_v_add_u32 v2, v2, s[sgprStrideC1J]                // ROWINC- Move cinRowPtr to next row
_v_add_u32 v3, v3, s[sgprStrideD1J]                // Move coutRowPtr to next row
v_cmp_lt_u32 s[56:57], v0, s[sgprSizeI]            // coord0 < size0
v_cmp_lt_u32 s[60:61], v1, s[sgprSizeJ]            // coord1 < size1
s_and_b64 s[60:61], s[56:57], s[60:61]             // in0 && in1
_v_add_lshl_u32 v6, v2, v0, 0x3                    // scaleToBpe: accumulate d0 lower and *= bpe into Cin addr
v_cndmask_b32 v6, -1, v6, s[60:61]                 // LDC clip if OOB. offset
_buffer_load_b64 v[8:9], v6, s[sgprSrdC:sgprSrdC+3], 0, offen offset:0,  nt // load C for beta calc
_v_add_lshl_u32 v6, v3, v0, 0x3                    // scaleToBpe: accumulate d0 lower and *= bpe into Cin addr
v_cndmask_b32 v6, -1, v6, s[60:61]                 // LDD clip if OOB. offset
/* (d1,vc1,d0,vc0)=(4,3,0,1) */
_v_add_co_u32 v4, vcc, v0, 1                       // coord0.1: coord0 += d0*sg0*VW + vc0
v_cmp_lt_u32 s[56:57], v4, s[sgprSizeI]            // coord0 < size0
v_cmp_lt_u32 s[60:61], v1, s[sgprSizeJ]            // coord1 < size1
s_and_b64 s[60:61], s[56:57], s[60:61]             // in0 && in1
_v_add_lshl_u32 v7, v2, v4, 0x3                    // scaleToBpe: accumulate d0 lower and *= bpe into Cin addr
v_cndmask_b32 v7, -1, v7, s[60:61]                 // LDC clip if OOB. offset
_buffer_load_b64 v[12:13], v7, s[sgprSrdC:sgprSrdC+3], 0, offen offset:0,  nt // load C for beta calc
_v_add_lshl_u32 v7, v3, v4, 0x3                    // scaleToBpe: accumulate d0 lower and *= bpe into Cin addr
v_cndmask_b32 v7, -1, v7, s[60:61]                 // LDD clip if OOB. offset
/* (d1,vc1,d0,vc0)=(4,3,1,0) */
s_mov_b32 s56, 128                                 // coordOffset0 d0=1 vc0=0
_v_add_co_u32 v4, vcc, v0, s56                     // coord0.2: coord0 += d0*sg0*VW + vc0
v_cmp_lt_u32 s[56:57], v4, s[sgprSizeI]            // coord0 < size0
v_cmp_lt_u32 s[60:61], v1, s[sgprSizeJ]            // coord1 < size1
s_and_b64 s[60:61], s[56:57], s[60:61]             // in0 && in1
_v_add_lshl_u32 v16, v2, v4, 0x3                   // scaleToBpe: accumulate d0 lower and *= bpe into Cin addr
v_cndmask_b32 v16, -1, v16, s[60:61]               // LDC clip if OOB. offset
_buffer_load_b64 v[18:19], v16, s[sgprSrdC:sgprSrdC+3], 0, offen offset:0,  nt // load C for beta calc
_v_add_lshl_u32 v16, v3, v4, 0x3                   // scaleToBpe: accumulate d0 lower and *= bpe into Cin addr
v_cndmask_b32 v16, -1, v16, s[60:61]               // LDD clip if OOB. offset
/* (d1,vc1,d0,vc0)=(4,3,1,1) */
s_mov_b32 s56, 129                                 // coordOffset0 d0=1 vc0=1
_v_add_co_u32 v4, vcc, v0, s56                     // coord0.2: coord0 += d0*sg0*VW + vc0
v_cmp_lt_u32 s[56:57], v4, s[sgprSizeI]            // coord0 < size0
v_cmp_lt_u32 s[60:61], v1, s[sgprSizeJ]            // coord1 < size1
s_and_b64 s[60:61], s[56:57], s[60:61]             // in0 && in1
_v_add_lshl_u32 v17, v2, v4, 0x3                   // scaleToBpe: accumulate d0 lower and *= bpe into Cin addr
v_cndmask_b32 v17, -1, v17, s[60:61]               // LDC clip if OOB. offset
_buffer_load_b64 v[22:23], v17, s[sgprSrdC:sgprSrdC+3], 0, offen offset:0,  nt // load C for beta calc
_v_add_lshl_u32 v17, v3, v4, 0x3                   // scaleToBpe: accumulate d0 lower and *= bpe into Cin addr
v_cndmask_b32 v17, -1, v17, s[60:61]               // LDD clip if OOB. offset
s_sleep 3 // optimization: sync and wait
s_barrier
v_accvgpr_read_b32 v[vgprValuC+10], acc67 // copy acc to vreg[152]
v_accvgpr_read_b32 v[vgprValuC+11], acc179 // copy acc to vreg[153]
v_accvgpr_read_b32 v[vgprValuC+14], acc71 // copy acc to vreg[154]
v_accvgpr_read_b32 v[vgprValuC+15], acc183 // copy acc to vreg[155]
v_accvgpr_read_b32 v[vgprValuC+20], acc75 // copy acc to vreg[156]
v_accvgpr_read_b32 v[vgprValuC+21], acc187 // copy acc to vreg[157]
v_accvgpr_read_b32 v[vgprValuC+24], acc79 // copy acc to vreg[158]
v_accvgpr_read_b32 v[vgprValuC+25], acc191 // copy acc to vreg[159]
s_nop 1                                            // 2 wait states required before reading vgpr

/* rC *= alpha batchElements=[(4, 0, 3, 0), (4, 0, 3, 1), (4, 1, 3, 0), (4, 1, 3, 1)] */
v_mov_b32 v26, v[vgprValuC+10]                     // store Cr
v_mul_f32 v[vgprValuC+10], s[sgprAlpha], v[vgprValuC+10] // *= alpha ( Cr = Ar * Cr)
_v_mac_f32 v[vgprValuC+10], -s[sgprAlpha+1], v[vgprValuC+11] // *= alpha ( Cr += -Ai * Ci )
v_mul_f32 v[vgprValuC+11], s[sgprAlpha], v[vgprValuC+11] // *= alpha ( Ci = Ar * Ci)
_v_mac_f32 v[vgprValuC+11], s[sgprAlpha+1], v26    // *= alpha ( Ci += Ai * Cr_backup )
v_mov_b32 v26, v[vgprValuC+14]                     // store Cr
v_mul_f32 v[vgprValuC+14], s[sgprAlpha], v[vgprValuC+14] // *= alpha ( Cr = Ar * Cr)
_v_mac_f32 v[vgprValuC+14], -s[sgprAlpha+1], v[vgprValuC+15] // *= alpha ( Cr += -Ai * Ci )
v_mul_f32 v[vgprValuC+15], s[sgprAlpha], v[vgprValuC+15] // *= alpha ( Ci = Ar * Ci)
_v_mac_f32 v[vgprValuC+15], s[sgprAlpha+1], v26    // *= alpha ( Ci += Ai * Cr_backup )
	;; [unrolled: 5-line block ×4, first 2 shown]
s_waitcnt vmcnt(0)                                 // wait C

/* apply mask, calc new C and issue writes */
_v_mac_f32 v[vgprValuC+10], v8, s[sgprBeta]        // finalSum Cr += old Cr * Br
_v_mac_f32 v[vgprValuC+10], v9, -s[sgprBeta+1]     // finalSum Cr += old Ci * -Bi
_v_mac_f32 v[vgprValuC+11], v9, s[sgprBeta]        // finalSum Ci += old Ci * Br
_v_mac_f32 v[vgprValuC+11], v8, s[sgprBeta+1]      // finalSum Ci += old Cr * Bi
_buffer_store_b64 v[10:11], v6, s[sgprSrdD:sgprSrdD+3], 0, offen, offset:0,  nt // store D
_v_mac_f32 v[vgprValuC+14], v12, s[sgprBeta]       // finalSum Cr += old Cr * Br
_v_mac_f32 v[vgprValuC+14], v13, -s[sgprBeta+1]    // finalSum Cr += old Ci * -Bi
_v_mac_f32 v[vgprValuC+15], v13, s[sgprBeta]       // finalSum Ci += old Ci * Br
_v_mac_f32 v[vgprValuC+15], v12, s[sgprBeta+1]     // finalSum Ci += old Cr * Bi
_buffer_store_b64 v[14:15], v7, s[sgprSrdD:sgprSrdD+3], 0, offen, offset:0,  nt // store D
_v_mac_f32 v[vgprValuC+20], v18, s[sgprBeta]       // finalSum Cr += old Cr * Br
_v_mac_f32 v[vgprValuC+20], v19, -s[sgprBeta+1]    // finalSum Cr += old Ci * -Bi
_v_mac_f32 v[vgprValuC+21], v19, s[sgprBeta]       // finalSum Ci += old Ci * Br
_v_mac_f32 v[vgprValuC+21], v18, s[sgprBeta+1]     // finalSum Ci += old Cr * Bi
_buffer_store_b64 v[20:21], v16, s[sgprSrdD:sgprSrdD+3], 0, offen, offset:0,  nt // store D
_v_mac_f32 v[vgprValuC+24], v22, s[sgprBeta]       // finalSum Cr += old Cr * Br
_v_mac_f32 v[vgprValuC+24], v23, -s[sgprBeta+1]    // finalSum Cr += old Ci * -Bi
_v_mac_f32 v[vgprValuC+25], v23, s[sgprBeta]       // finalSum Ci += old Ci * Br
_v_mac_f32 v[vgprValuC+25], v22, s[sgprBeta+1]     // finalSum Ci += old Cr * Bi
_buffer_store_b64 v[24:25], v17, s[sgprSrdD:sgprSrdD+3], 0, offen, offset:0,  nt // store D
s_nop 0                                            // 1 wait state required when next inst writes vgprs held by previous dwordx4 store inst
/* optSingleColVgpr=0 optSharedColVgpr=0 optSGPRUsage=BufferLoad_Edge_Mask optSrdIncForRow=0 */
s_sleep 3 // optimization: sync and wait
s_barrier

/******************************************/
/* Global Write Alpha Beta Edge Batch #20 (d1,d0,vc1,vc0) = */
/*    (5,0,0,0:vw1); (5,0,0,1:vw1); (5,1,0,0:vw1); (5,1,0,1:vw1) */
/******************************************/

/* calc coords, apply mask, and issue loads (if necessary) */
/* (d1,vc1,d0,vc0)=(5,0,0,0) */
_v_add_co_u32 v1, vcc, v1, 13                      // coord1.1: coord1Vgpr += d1*sg1*VW + vc1

/* Fix for UseInitialStridesCD, emitAddressSetupCode */
s_mul_i32 s56, s[sgprStrideC1J], 13                // scale stride
_v_add_u32 v2, v2, s56                             // ROWINC- Move cinRowPtr to next row
s_mul_i32 s56, s[sgprStrideD1J], 13                // scale stride
_v_add_u32 v3, v3, s56                             // Move coutRowPtr to next row
v_cmp_lt_u32 s[56:57], v0, s[sgprSizeI]            // coord0 < size0
v_cmp_lt_u32 s[60:61], v1, s[sgprSizeJ]            // coord1 < size1
s_and_b64 s[60:61], s[56:57], s[60:61]             // in0 && in1
_v_add_lshl_u32 v6, v2, v0, 0x3                    // scaleToBpe: accumulate d0 lower and *= bpe into Cin addr
v_cndmask_b32 v6, -1, v6, s[60:61]                 // LDC clip if OOB. offset
_buffer_load_b64 v[8:9], v6, s[sgprSrdC:sgprSrdC+3], 0, offen offset:0,  nt // load C for beta calc
_v_add_lshl_u32 v6, v3, v0, 0x3                    // scaleToBpe: accumulate d0 lower and *= bpe into Cin addr
v_cndmask_b32 v6, -1, v6, s[60:61]                 // LDD clip if OOB. offset
/* (d1,vc1,d0,vc0)=(5,0,0,1) */
_v_add_co_u32 v4, vcc, v0, 1                       // coord0.1: coord0 += d0*sg0*VW + vc0
v_cmp_lt_u32 s[56:57], v4, s[sgprSizeI]            // coord0 < size0
v_cmp_lt_u32 s[60:61], v1, s[sgprSizeJ]            // coord1 < size1
s_and_b64 s[60:61], s[56:57], s[60:61]             // in0 && in1
_v_add_lshl_u32 v7, v2, v4, 0x3                    // scaleToBpe: accumulate d0 lower and *= bpe into Cin addr
v_cndmask_b32 v7, -1, v7, s[60:61]                 // LDC clip if OOB. offset
_buffer_load_b64 v[12:13], v7, s[sgprSrdC:sgprSrdC+3], 0, offen offset:0,  nt // load C for beta calc
_v_add_lshl_u32 v7, v3, v4, 0x3                    // scaleToBpe: accumulate d0 lower and *= bpe into Cin addr
v_cndmask_b32 v7, -1, v7, s[60:61]                 // LDD clip if OOB. offset
/* (d1,vc1,d0,vc0)=(5,0,1,0) */
s_mov_b32 s56, 128                                 // coordOffset0 d0=1 vc0=0
_v_add_co_u32 v4, vcc, v0, s56                     // coord0.2: coord0 += d0*sg0*VW + vc0
v_cmp_lt_u32 s[56:57], v4, s[sgprSizeI]            // coord0 < size0
v_cmp_lt_u32 s[60:61], v1, s[sgprSizeJ]            // coord1 < size1
s_and_b64 s[60:61], s[56:57], s[60:61]             // in0 && in1
_v_add_lshl_u32 v16, v2, v4, 0x3                   // scaleToBpe: accumulate d0 lower and *= bpe into Cin addr
v_cndmask_b32 v16, -1, v16, s[60:61]               // LDC clip if OOB. offset
_buffer_load_b64 v[18:19], v16, s[sgprSrdC:sgprSrdC+3], 0, offen offset:0,  nt // load C for beta calc
_v_add_lshl_u32 v16, v3, v4, 0x3                   // scaleToBpe: accumulate d0 lower and *= bpe into Cin addr
v_cndmask_b32 v16, -1, v16, s[60:61]               // LDD clip if OOB. offset
/* (d1,vc1,d0,vc0)=(5,0,1,1) */
s_mov_b32 s56, 129                                 // coordOffset0 d0=1 vc0=1
_v_add_co_u32 v4, vcc, v0, s56                     // coord0.2: coord0 += d0*sg0*VW + vc0
v_cmp_lt_u32 s[56:57], v4, s[sgprSizeI]            // coord0 < size0
v_cmp_lt_u32 s[60:61], v1, s[sgprSizeJ]            // coord1 < size1
s_and_b64 s[60:61], s[56:57], s[60:61]             // in0 && in1
_v_add_lshl_u32 v17, v2, v4, 0x3                   // scaleToBpe: accumulate d0 lower and *= bpe into Cin addr
v_cndmask_b32 v17, -1, v17, s[60:61]               // LDC clip if OOB. offset
_buffer_load_b64 v[22:23], v17, s[sgprSrdC:sgprSrdC+3], 0, offen offset:0,  nt // load C for beta calc
_v_add_lshl_u32 v17, v3, v4, 0x3                   // scaleToBpe: accumulate d0 lower and *= bpe into Cin addr
v_cndmask_b32 v17, -1, v17, s[60:61]               // LDD clip if OOB. offset
s_sleep 3 // optimization: sync and wait
s_barrier
v_accvgpr_read_b32 v[vgprValuC+10], acc80 // copy acc to vreg[160]
v_accvgpr_read_b32 v[vgprValuC+11], acc192 // copy acc to vreg[161]
v_accvgpr_read_b32 v[vgprValuC+14], acc84 // copy acc to vreg[162]
v_accvgpr_read_b32 v[vgprValuC+15], acc196 // copy acc to vreg[163]
v_accvgpr_read_b32 v[vgprValuC+20], acc88 // copy acc to vreg[164]
v_accvgpr_read_b32 v[vgprValuC+21], acc200 // copy acc to vreg[165]
v_accvgpr_read_b32 v[vgprValuC+24], acc92 // copy acc to vreg[166]
v_accvgpr_read_b32 v[vgprValuC+25], acc204 // copy acc to vreg[167]
s_nop 1                                            // 2 wait states required before reading vgpr

/* rC *= alpha batchElements=[(5, 0, 0, 0), (5, 0, 0, 1), (5, 1, 0, 0), (5, 1, 0, 1)] */
v_mov_b32 v26, v[vgprValuC+10]                     // store Cr
v_mul_f32 v[vgprValuC+10], s[sgprAlpha], v[vgprValuC+10] // *= alpha ( Cr = Ar * Cr)
_v_mac_f32 v[vgprValuC+10], -s[sgprAlpha+1], v[vgprValuC+11] // *= alpha ( Cr += -Ai * Ci )
v_mul_f32 v[vgprValuC+11], s[sgprAlpha], v[vgprValuC+11] // *= alpha ( Ci = Ar * Ci)
_v_mac_f32 v[vgprValuC+11], s[sgprAlpha+1], v26    // *= alpha ( Ci += Ai * Cr_backup )
v_mov_b32 v26, v[vgprValuC+14]                     // store Cr
v_mul_f32 v[vgprValuC+14], s[sgprAlpha], v[vgprValuC+14] // *= alpha ( Cr = Ar * Cr)
_v_mac_f32 v[vgprValuC+14], -s[sgprAlpha+1], v[vgprValuC+15] // *= alpha ( Cr += -Ai * Ci )
v_mul_f32 v[vgprValuC+15], s[sgprAlpha], v[vgprValuC+15] // *= alpha ( Ci = Ar * Ci)
_v_mac_f32 v[vgprValuC+15], s[sgprAlpha+1], v26    // *= alpha ( Ci += Ai * Cr_backup )
	;; [unrolled: 5-line block ×4, first 2 shown]
s_waitcnt vmcnt(0)                                 // wait C

/* apply mask, calc new C and issue writes */
_v_mac_f32 v[vgprValuC+10], v8, s[sgprBeta]        // finalSum Cr += old Cr * Br
_v_mac_f32 v[vgprValuC+10], v9, -s[sgprBeta+1]     // finalSum Cr += old Ci * -Bi
_v_mac_f32 v[vgprValuC+11], v9, s[sgprBeta]        // finalSum Ci += old Ci * Br
_v_mac_f32 v[vgprValuC+11], v8, s[sgprBeta+1]      // finalSum Ci += old Cr * Bi
_buffer_store_b64 v[10:11], v6, s[sgprSrdD:sgprSrdD+3], 0, offen, offset:0,  nt // store D
_v_mac_f32 v[vgprValuC+14], v12, s[sgprBeta]       // finalSum Cr += old Cr * Br
_v_mac_f32 v[vgprValuC+14], v13, -s[sgprBeta+1]    // finalSum Cr += old Ci * -Bi
_v_mac_f32 v[vgprValuC+15], v13, s[sgprBeta]       // finalSum Ci += old Ci * Br
_v_mac_f32 v[vgprValuC+15], v12, s[sgprBeta+1]     // finalSum Ci += old Cr * Bi
_buffer_store_b64 v[14:15], v7, s[sgprSrdD:sgprSrdD+3], 0, offen, offset:0,  nt // store D
_v_mac_f32 v[vgprValuC+20], v18, s[sgprBeta]       // finalSum Cr += old Cr * Br
_v_mac_f32 v[vgprValuC+20], v19, -s[sgprBeta+1]    // finalSum Cr += old Ci * -Bi
_v_mac_f32 v[vgprValuC+21], v19, s[sgprBeta]       // finalSum Ci += old Ci * Br
_v_mac_f32 v[vgprValuC+21], v18, s[sgprBeta+1]     // finalSum Ci += old Cr * Bi
	;; [unrolled: 5-line block ×3, first 2 shown]
_buffer_store_b64 v[24:25], v17, s[sgprSrdD:sgprSrdD+3], 0, offen, offset:0,  nt // store D
s_nop 0                                            // 1 wait state required when next inst writes vgprs held by previous dwordx4 store inst
/* optSingleColVgpr=0 optSharedColVgpr=0 optSGPRUsage=BufferLoad_Edge_Mask optSrdIncForRow=0 */
s_sleep 3 // optimization: sync and wait
s_barrier

/******************************************/
/* Global Write Alpha Beta Edge Batch #21 (d1,d0,vc1,vc0) = */
/*    (5,0,1,0:vw1); (5,0,1,1:vw1); (5,1,1,0:vw1); (5,1,1,1:vw1) */
/******************************************/

/* calc coords, apply mask, and issue loads (if necessary) */
/* (d1,vc1,d0,vc0)=(5,1,0,0) */
_v_add_co_u32 v1, vcc, v1, 1                       // coord1.1: coord1Vgpr += d1*sg1*VW + vc1

/* Fix for UseInitialStridesCD, emitAddressSetupCode */
_v_add_u32 v2, v2, s[sgprStrideC1J]                // ROWINC- Move cinRowPtr to next row
_v_add_u32 v3, v3, s[sgprStrideD1J]                // Move coutRowPtr to next row
v_cmp_lt_u32 s[56:57], v0, s[sgprSizeI]            // coord0 < size0
v_cmp_lt_u32 s[60:61], v1, s[sgprSizeJ]            // coord1 < size1
s_and_b64 s[60:61], s[56:57], s[60:61]             // in0 && in1
_v_add_lshl_u32 v6, v2, v0, 0x3                    // scaleToBpe: accumulate d0 lower and *= bpe into Cin addr
v_cndmask_b32 v6, -1, v6, s[60:61]                 // LDC clip if OOB. offset
_buffer_load_b64 v[8:9], v6, s[sgprSrdC:sgprSrdC+3], 0, offen offset:0,  nt // load C for beta calc
_v_add_lshl_u32 v6, v3, v0, 0x3                    // scaleToBpe: accumulate d0 lower and *= bpe into Cin addr
v_cndmask_b32 v6, -1, v6, s[60:61]                 // LDD clip if OOB. offset
/* (d1,vc1,d0,vc0)=(5,1,0,1) */
_v_add_co_u32 v4, vcc, v0, 1                       // coord0.1: coord0 += d0*sg0*VW + vc0
v_cmp_lt_u32 s[56:57], v4, s[sgprSizeI]            // coord0 < size0
v_cmp_lt_u32 s[60:61], v1, s[sgprSizeJ]            // coord1 < size1
s_and_b64 s[60:61], s[56:57], s[60:61]             // in0 && in1
_v_add_lshl_u32 v7, v2, v4, 0x3                    // scaleToBpe: accumulate d0 lower and *= bpe into Cin addr
v_cndmask_b32 v7, -1, v7, s[60:61]                 // LDC clip if OOB. offset
_buffer_load_b64 v[12:13], v7, s[sgprSrdC:sgprSrdC+3], 0, offen offset:0,  nt // load C for beta calc
_v_add_lshl_u32 v7, v3, v4, 0x3                    // scaleToBpe: accumulate d0 lower and *= bpe into Cin addr
v_cndmask_b32 v7, -1, v7, s[60:61]                 // LDD clip if OOB. offset
/* (d1,vc1,d0,vc0)=(5,1,1,0) */
s_mov_b32 s56, 128                                 // coordOffset0 d0=1 vc0=0
_v_add_co_u32 v4, vcc, v0, s56                     // coord0.2: coord0 += d0*sg0*VW + vc0
v_cmp_lt_u32 s[56:57], v4, s[sgprSizeI]            // coord0 < size0
v_cmp_lt_u32 s[60:61], v1, s[sgprSizeJ]            // coord1 < size1
s_and_b64 s[60:61], s[56:57], s[60:61]             // in0 && in1
_v_add_lshl_u32 v16, v2, v4, 0x3                   // scaleToBpe: accumulate d0 lower and *= bpe into Cin addr
v_cndmask_b32 v16, -1, v16, s[60:61]               // LDC clip if OOB. offset
_buffer_load_b64 v[18:19], v16, s[sgprSrdC:sgprSrdC+3], 0, offen offset:0,  nt // load C for beta calc
_v_add_lshl_u32 v16, v3, v4, 0x3                   // scaleToBpe: accumulate d0 lower and *= bpe into Cin addr
v_cndmask_b32 v16, -1, v16, s[60:61]               // LDD clip if OOB. offset
/* (d1,vc1,d0,vc0)=(5,1,1,1) */
s_mov_b32 s56, 129                                 // coordOffset0 d0=1 vc0=1
_v_add_co_u32 v4, vcc, v0, s56                     // coord0.2: coord0 += d0*sg0*VW + vc0
v_cmp_lt_u32 s[56:57], v4, s[sgprSizeI]            // coord0 < size0
v_cmp_lt_u32 s[60:61], v1, s[sgprSizeJ]            // coord1 < size1
s_and_b64 s[60:61], s[56:57], s[60:61]             // in0 && in1
_v_add_lshl_u32 v17, v2, v4, 0x3                   // scaleToBpe: accumulate d0 lower and *= bpe into Cin addr
v_cndmask_b32 v17, -1, v17, s[60:61]               // LDC clip if OOB. offset
_buffer_load_b64 v[22:23], v17, s[sgprSrdC:sgprSrdC+3], 0, offen offset:0,  nt // load C for beta calc
_v_add_lshl_u32 v17, v3, v4, 0x3                   // scaleToBpe: accumulate d0 lower and *= bpe into Cin addr
v_cndmask_b32 v17, -1, v17, s[60:61]               // LDD clip if OOB. offset
s_sleep 3 // optimization: sync and wait
s_barrier
v_accvgpr_read_b32 v[vgprValuC+10], acc81 // copy acc to vreg[168]
v_accvgpr_read_b32 v[vgprValuC+11], acc193 // copy acc to vreg[169]
v_accvgpr_read_b32 v[vgprValuC+14], acc85 // copy acc to vreg[170]
v_accvgpr_read_b32 v[vgprValuC+15], acc197 // copy acc to vreg[171]
v_accvgpr_read_b32 v[vgprValuC+20], acc89 // copy acc to vreg[172]
v_accvgpr_read_b32 v[vgprValuC+21], acc201 // copy acc to vreg[173]
v_accvgpr_read_b32 v[vgprValuC+24], acc93 // copy acc to vreg[174]
v_accvgpr_read_b32 v[vgprValuC+25], acc205 // copy acc to vreg[175]
s_nop 1                                            // 2 wait states required before reading vgpr

/* rC *= alpha batchElements=[(5, 0, 1, 0), (5, 0, 1, 1), (5, 1, 1, 0), (5, 1, 1, 1)] */
v_mov_b32 v26, v[vgprValuC+10]                     // store Cr
v_mul_f32 v[vgprValuC+10], s[sgprAlpha], v[vgprValuC+10] // *= alpha ( Cr = Ar * Cr)
_v_mac_f32 v[vgprValuC+10], -s[sgprAlpha+1], v[vgprValuC+11] // *= alpha ( Cr += -Ai * Ci )
v_mul_f32 v[vgprValuC+11], s[sgprAlpha], v[vgprValuC+11] // *= alpha ( Ci = Ar * Ci)
_v_mac_f32 v[vgprValuC+11], s[sgprAlpha+1], v26    // *= alpha ( Ci += Ai * Cr_backup )
v_mov_b32 v26, v[vgprValuC+14]                     // store Cr
v_mul_f32 v[vgprValuC+14], s[sgprAlpha], v[vgprValuC+14] // *= alpha ( Cr = Ar * Cr)
_v_mac_f32 v[vgprValuC+14], -s[sgprAlpha+1], v[vgprValuC+15] // *= alpha ( Cr += -Ai * Ci )
v_mul_f32 v[vgprValuC+15], s[sgprAlpha], v[vgprValuC+15] // *= alpha ( Ci = Ar * Ci)
_v_mac_f32 v[vgprValuC+15], s[sgprAlpha+1], v26    // *= alpha ( Ci += Ai * Cr_backup )
	;; [unrolled: 5-line block ×4, first 2 shown]
s_waitcnt vmcnt(0)                                 // wait C

/* apply mask, calc new C and issue writes */
_v_mac_f32 v[vgprValuC+10], v8, s[sgprBeta]        // finalSum Cr += old Cr * Br
_v_mac_f32 v[vgprValuC+10], v9, -s[sgprBeta+1]     // finalSum Cr += old Ci * -Bi
_v_mac_f32 v[vgprValuC+11], v9, s[sgprBeta]        // finalSum Ci += old Ci * Br
_v_mac_f32 v[vgprValuC+11], v8, s[sgprBeta+1]      // finalSum Ci += old Cr * Bi
_buffer_store_b64 v[10:11], v6, s[sgprSrdD:sgprSrdD+3], 0, offen, offset:0,  nt // store D
_v_mac_f32 v[vgprValuC+14], v12, s[sgprBeta]       // finalSum Cr += old Cr * Br
_v_mac_f32 v[vgprValuC+14], v13, -s[sgprBeta+1]    // finalSum Cr += old Ci * -Bi
_v_mac_f32 v[vgprValuC+15], v13, s[sgprBeta]       // finalSum Ci += old Ci * Br
_v_mac_f32 v[vgprValuC+15], v12, s[sgprBeta+1]     // finalSum Ci += old Cr * Bi
_buffer_store_b64 v[14:15], v7, s[sgprSrdD:sgprSrdD+3], 0, offen, offset:0,  nt // store D
_v_mac_f32 v[vgprValuC+20], v18, s[sgprBeta]       // finalSum Cr += old Cr * Br
_v_mac_f32 v[vgprValuC+20], v19, -s[sgprBeta+1]    // finalSum Cr += old Ci * -Bi
_v_mac_f32 v[vgprValuC+21], v19, s[sgprBeta]       // finalSum Ci += old Ci * Br
_v_mac_f32 v[vgprValuC+21], v18, s[sgprBeta+1]     // finalSum Ci += old Cr * Bi
	;; [unrolled: 5-line block ×3, first 2 shown]
_buffer_store_b64 v[24:25], v17, s[sgprSrdD:sgprSrdD+3], 0, offen, offset:0,  nt // store D
s_nop 0                                            // 1 wait state required when next inst writes vgprs held by previous dwordx4 store inst
/* optSingleColVgpr=0 optSharedColVgpr=0 optSGPRUsage=BufferLoad_Edge_Mask optSrdIncForRow=0 */
s_sleep 3 // optimization: sync and wait
s_barrier

/******************************************/
/* Global Write Alpha Beta Edge Batch #22 (d1,d0,vc1,vc0) = */
/*    (5,0,2,0:vw1); (5,0,2,1:vw1); (5,1,2,0:vw1); (5,1,2,1:vw1) */
/******************************************/

/* calc coords, apply mask, and issue loads (if necessary) */
/* (d1,vc1,d0,vc0)=(5,2,0,0) */
_v_add_co_u32 v1, vcc, v1, 1                       // coord1.1: coord1Vgpr += d1*sg1*VW + vc1

/* Fix for UseInitialStridesCD, emitAddressSetupCode */
_v_add_u32 v2, v2, s[sgprStrideC1J]                // ROWINC- Move cinRowPtr to next row
_v_add_u32 v3, v3, s[sgprStrideD1J]                // Move coutRowPtr to next row
v_cmp_lt_u32 s[56:57], v0, s[sgprSizeI]            // coord0 < size0
v_cmp_lt_u32 s[60:61], v1, s[sgprSizeJ]            // coord1 < size1
s_and_b64 s[60:61], s[56:57], s[60:61]             // in0 && in1
_v_add_lshl_u32 v6, v2, v0, 0x3                    // scaleToBpe: accumulate d0 lower and *= bpe into Cin addr
v_cndmask_b32 v6, -1, v6, s[60:61]                 // LDC clip if OOB. offset
_buffer_load_b64 v[8:9], v6, s[sgprSrdC:sgprSrdC+3], 0, offen offset:0,  nt // load C for beta calc
_v_add_lshl_u32 v6, v3, v0, 0x3                    // scaleToBpe: accumulate d0 lower and *= bpe into Cin addr
v_cndmask_b32 v6, -1, v6, s[60:61]                 // LDD clip if OOB. offset
/* (d1,vc1,d0,vc0)=(5,2,0,1) */
_v_add_co_u32 v4, vcc, v0, 1                       // coord0.1: coord0 += d0*sg0*VW + vc0
v_cmp_lt_u32 s[56:57], v4, s[sgprSizeI]            // coord0 < size0
v_cmp_lt_u32 s[60:61], v1, s[sgprSizeJ]            // coord1 < size1
s_and_b64 s[60:61], s[56:57], s[60:61]             // in0 && in1
_v_add_lshl_u32 v7, v2, v4, 0x3                    // scaleToBpe: accumulate d0 lower and *= bpe into Cin addr
v_cndmask_b32 v7, -1, v7, s[60:61]                 // LDC clip if OOB. offset
_buffer_load_b64 v[12:13], v7, s[sgprSrdC:sgprSrdC+3], 0, offen offset:0,  nt // load C for beta calc
_v_add_lshl_u32 v7, v3, v4, 0x3                    // scaleToBpe: accumulate d0 lower and *= bpe into Cin addr
v_cndmask_b32 v7, -1, v7, s[60:61]                 // LDD clip if OOB. offset
/* (d1,vc1,d0,vc0)=(5,2,1,0) */
s_mov_b32 s56, 128                                 // coordOffset0 d0=1 vc0=0
_v_add_co_u32 v4, vcc, v0, s56                     // coord0.2: coord0 += d0*sg0*VW + vc0
v_cmp_lt_u32 s[56:57], v4, s[sgprSizeI]            // coord0 < size0
v_cmp_lt_u32 s[60:61], v1, s[sgprSizeJ]            // coord1 < size1
s_and_b64 s[60:61], s[56:57], s[60:61]             // in0 && in1
_v_add_lshl_u32 v16, v2, v4, 0x3                   // scaleToBpe: accumulate d0 lower and *= bpe into Cin addr
v_cndmask_b32 v16, -1, v16, s[60:61]               // LDC clip if OOB. offset
_buffer_load_b64 v[18:19], v16, s[sgprSrdC:sgprSrdC+3], 0, offen offset:0,  nt // load C for beta calc
_v_add_lshl_u32 v16, v3, v4, 0x3                   // scaleToBpe: accumulate d0 lower and *= bpe into Cin addr
v_cndmask_b32 v16, -1, v16, s[60:61]               // LDD clip if OOB. offset
/* (d1,vc1,d0,vc0)=(5,2,1,1) */
s_mov_b32 s56, 129                                 // coordOffset0 d0=1 vc0=1
_v_add_co_u32 v4, vcc, v0, s56                     // coord0.2: coord0 += d0*sg0*VW + vc0
v_cmp_lt_u32 s[56:57], v4, s[sgprSizeI]            // coord0 < size0
v_cmp_lt_u32 s[60:61], v1, s[sgprSizeJ]            // coord1 < size1
s_and_b64 s[60:61], s[56:57], s[60:61]             // in0 && in1
_v_add_lshl_u32 v17, v2, v4, 0x3                   // scaleToBpe: accumulate d0 lower and *= bpe into Cin addr
v_cndmask_b32 v17, -1, v17, s[60:61]               // LDC clip if OOB. offset
_buffer_load_b64 v[22:23], v17, s[sgprSrdC:sgprSrdC+3], 0, offen offset:0,  nt // load C for beta calc
_v_add_lshl_u32 v17, v3, v4, 0x3                   // scaleToBpe: accumulate d0 lower and *= bpe into Cin addr
v_cndmask_b32 v17, -1, v17, s[60:61]               // LDD clip if OOB. offset
s_sleep 3 // optimization: sync and wait
s_barrier
v_accvgpr_read_b32 v[vgprValuC+10], acc82 // copy acc to vreg[176]
v_accvgpr_read_b32 v[vgprValuC+11], acc194 // copy acc to vreg[177]
v_accvgpr_read_b32 v[vgprValuC+14], acc86 // copy acc to vreg[178]
v_accvgpr_read_b32 v[vgprValuC+15], acc198 // copy acc to vreg[179]
v_accvgpr_read_b32 v[vgprValuC+20], acc90 // copy acc to vreg[180]
v_accvgpr_read_b32 v[vgprValuC+21], acc202 // copy acc to vreg[181]
v_accvgpr_read_b32 v[vgprValuC+24], acc94 // copy acc to vreg[182]
v_accvgpr_read_b32 v[vgprValuC+25], acc206 // copy acc to vreg[183]
s_nop 1                                            // 2 wait states required before reading vgpr

/* rC *= alpha batchElements=[(5, 0, 2, 0), (5, 0, 2, 1), (5, 1, 2, 0), (5, 1, 2, 1)] */
v_mov_b32 v26, v[vgprValuC+10]                     // store Cr
v_mul_f32 v[vgprValuC+10], s[sgprAlpha], v[vgprValuC+10] // *= alpha ( Cr = Ar * Cr)
_v_mac_f32 v[vgprValuC+10], -s[sgprAlpha+1], v[vgprValuC+11] // *= alpha ( Cr += -Ai * Ci )
v_mul_f32 v[vgprValuC+11], s[sgprAlpha], v[vgprValuC+11] // *= alpha ( Ci = Ar * Ci)
_v_mac_f32 v[vgprValuC+11], s[sgprAlpha+1], v26    // *= alpha ( Ci += Ai * Cr_backup )
v_mov_b32 v26, v[vgprValuC+14]                     // store Cr
v_mul_f32 v[vgprValuC+14], s[sgprAlpha], v[vgprValuC+14] // *= alpha ( Cr = Ar * Cr)
_v_mac_f32 v[vgprValuC+14], -s[sgprAlpha+1], v[vgprValuC+15] // *= alpha ( Cr += -Ai * Ci )
v_mul_f32 v[vgprValuC+15], s[sgprAlpha], v[vgprValuC+15] // *= alpha ( Ci = Ar * Ci)
_v_mac_f32 v[vgprValuC+15], s[sgprAlpha+1], v26    // *= alpha ( Ci += Ai * Cr_backup )
	;; [unrolled: 5-line block ×4, first 2 shown]
s_waitcnt vmcnt(0)                                 // wait C

/* apply mask, calc new C and issue writes */
_v_mac_f32 v[vgprValuC+10], v8, s[sgprBeta]        // finalSum Cr += old Cr * Br
_v_mac_f32 v[vgprValuC+10], v9, -s[sgprBeta+1]     // finalSum Cr += old Ci * -Bi
_v_mac_f32 v[vgprValuC+11], v9, s[sgprBeta]        // finalSum Ci += old Ci * Br
_v_mac_f32 v[vgprValuC+11], v8, s[sgprBeta+1]      // finalSum Ci += old Cr * Bi
_buffer_store_b64 v[10:11], v6, s[sgprSrdD:sgprSrdD+3], 0, offen, offset:0,  nt // store D
_v_mac_f32 v[vgprValuC+14], v12, s[sgprBeta]       // finalSum Cr += old Cr * Br
_v_mac_f32 v[vgprValuC+14], v13, -s[sgprBeta+1]    // finalSum Cr += old Ci * -Bi
_v_mac_f32 v[vgprValuC+15], v13, s[sgprBeta]       // finalSum Ci += old Ci * Br
_v_mac_f32 v[vgprValuC+15], v12, s[sgprBeta+1]     // finalSum Ci += old Cr * Bi
_buffer_store_b64 v[14:15], v7, s[sgprSrdD:sgprSrdD+3], 0, offen, offset:0,  nt // store D
_v_mac_f32 v[vgprValuC+20], v18, s[sgprBeta]       // finalSum Cr += old Cr * Br
_v_mac_f32 v[vgprValuC+20], v19, -s[sgprBeta+1]    // finalSum Cr += old Ci * -Bi
_v_mac_f32 v[vgprValuC+21], v19, s[sgprBeta]       // finalSum Ci += old Ci * Br
_v_mac_f32 v[vgprValuC+21], v18, s[sgprBeta+1]     // finalSum Ci += old Cr * Bi
_buffer_store_b64 v[20:21], v16, s[sgprSrdD:sgprSrdD+3], 0, offen, offset:0,  nt // store D
_v_mac_f32 v[vgprValuC+24], v22, s[sgprBeta]       // finalSum Cr += old Cr * Br
_v_mac_f32 v[vgprValuC+24], v23, -s[sgprBeta+1]    // finalSum Cr += old Ci * -Bi
_v_mac_f32 v[vgprValuC+25], v23, s[sgprBeta]       // finalSum Ci += old Ci * Br
_v_mac_f32 v[vgprValuC+25], v22, s[sgprBeta+1]     // finalSum Ci += old Cr * Bi
_buffer_store_b64 v[24:25], v17, s[sgprSrdD:sgprSrdD+3], 0, offen, offset:0,  nt // store D
s_nop 0                                            // 1 wait state required when next inst writes vgprs held by previous dwordx4 store inst
/* optSingleColVgpr=0 optSharedColVgpr=0 optSGPRUsage=BufferLoad_Edge_Mask optSrdIncForRow=0 */
s_sleep 3 // optimization: sync and wait
s_barrier

/******************************************/
/* Global Write Alpha Beta Edge Batch #23 (d1,d0,vc1,vc0) = */
/*    (5,0,3,0:vw1); (5,0,3,1:vw1); (5,1,3,0:vw1); (5,1,3,1:vw1) */
/******************************************/

/* calc coords, apply mask, and issue loads (if necessary) */
/* (d1,vc1,d0,vc0)=(5,3,0,0) */
_v_add_co_u32 v1, vcc, v1, 1                       // coord1.1: coord1Vgpr += d1*sg1*VW + vc1

/* Fix for UseInitialStridesCD, emitAddressSetupCode */
_v_add_u32 v2, v2, s[sgprStrideC1J]                // ROWINC- Move cinRowPtr to next row
_v_add_u32 v3, v3, s[sgprStrideD1J]                // Move coutRowPtr to next row
v_cmp_lt_u32 s[56:57], v0, s[sgprSizeI]            // coord0 < size0
v_cmp_lt_u32 s[60:61], v1, s[sgprSizeJ]            // coord1 < size1
s_and_b64 s[60:61], s[56:57], s[60:61]             // in0 && in1
_v_add_lshl_u32 v6, v2, v0, 0x3                    // scaleToBpe: accumulate d0 lower and *= bpe into Cin addr
v_cndmask_b32 v6, -1, v6, s[60:61]                 // LDC clip if OOB. offset
_buffer_load_b64 v[8:9], v6, s[sgprSrdC:sgprSrdC+3], 0, offen offset:0,  nt // load C for beta calc
_v_add_lshl_u32 v6, v3, v0, 0x3                    // scaleToBpe: accumulate d0 lower and *= bpe into Cin addr
v_cndmask_b32 v6, -1, v6, s[60:61]                 // LDD clip if OOB. offset
/* (d1,vc1,d0,vc0)=(5,3,0,1) */
_v_add_co_u32 v4, vcc, v0, 1                       // coord0.1: coord0 += d0*sg0*VW + vc0
v_cmp_lt_u32 s[56:57], v4, s[sgprSizeI]            // coord0 < size0
v_cmp_lt_u32 s[60:61], v1, s[sgprSizeJ]            // coord1 < size1
s_and_b64 s[60:61], s[56:57], s[60:61]             // in0 && in1
_v_add_lshl_u32 v7, v2, v4, 0x3                    // scaleToBpe: accumulate d0 lower and *= bpe into Cin addr
v_cndmask_b32 v7, -1, v7, s[60:61]                 // LDC clip if OOB. offset
_buffer_load_b64 v[12:13], v7, s[sgprSrdC:sgprSrdC+3], 0, offen offset:0,  nt // load C for beta calc
_v_add_lshl_u32 v7, v3, v4, 0x3                    // scaleToBpe: accumulate d0 lower and *= bpe into Cin addr
v_cndmask_b32 v7, -1, v7, s[60:61]                 // LDD clip if OOB. offset
/* (d1,vc1,d0,vc0)=(5,3,1,0) */
s_mov_b32 s56, 128                                 // coordOffset0 d0=1 vc0=0
_v_add_co_u32 v4, vcc, v0, s56                     // coord0.2: coord0 += d0*sg0*VW + vc0
v_cmp_lt_u32 s[56:57], v4, s[sgprSizeI]            // coord0 < size0
v_cmp_lt_u32 s[60:61], v1, s[sgprSizeJ]            // coord1 < size1
s_and_b64 s[60:61], s[56:57], s[60:61]             // in0 && in1
_v_add_lshl_u32 v16, v2, v4, 0x3                   // scaleToBpe: accumulate d0 lower and *= bpe into Cin addr
v_cndmask_b32 v16, -1, v16, s[60:61]               // LDC clip if OOB. offset
_buffer_load_b64 v[18:19], v16, s[sgprSrdC:sgprSrdC+3], 0, offen offset:0,  nt // load C for beta calc
_v_add_lshl_u32 v16, v3, v4, 0x3                   // scaleToBpe: accumulate d0 lower and *= bpe into Cin addr
v_cndmask_b32 v16, -1, v16, s[60:61]               // LDD clip if OOB. offset
/* (d1,vc1,d0,vc0)=(5,3,1,1) */
s_mov_b32 s56, 129                                 // coordOffset0 d0=1 vc0=1
_v_add_co_u32 v4, vcc, v0, s56                     // coord0.2: coord0 += d0*sg0*VW + vc0
v_cmp_lt_u32 s[56:57], v4, s[sgprSizeI]            // coord0 < size0
v_cmp_lt_u32 s[60:61], v1, s[sgprSizeJ]            // coord1 < size1
s_and_b64 s[60:61], s[56:57], s[60:61]             // in0 && in1
_v_add_lshl_u32 v17, v2, v4, 0x3                   // scaleToBpe: accumulate d0 lower and *= bpe into Cin addr
v_cndmask_b32 v17, -1, v17, s[60:61]               // LDC clip if OOB. offset
_buffer_load_b64 v[22:23], v17, s[sgprSrdC:sgprSrdC+3], 0, offen offset:0,  nt // load C for beta calc
_v_add_lshl_u32 v17, v3, v4, 0x3                   // scaleToBpe: accumulate d0 lower and *= bpe into Cin addr
v_cndmask_b32 v17, -1, v17, s[60:61]               // LDD clip if OOB. offset
s_sleep 3 // optimization: sync and wait
s_barrier
v_accvgpr_read_b32 v[vgprValuC+10], acc83 // copy acc to vreg[184]
v_accvgpr_read_b32 v[vgprValuC+11], acc195 // copy acc to vreg[185]
v_accvgpr_read_b32 v[vgprValuC+14], acc87 // copy acc to vreg[186]
v_accvgpr_read_b32 v[vgprValuC+15], acc199 // copy acc to vreg[187]
v_accvgpr_read_b32 v[vgprValuC+20], acc91 // copy acc to vreg[188]
v_accvgpr_read_b32 v[vgprValuC+21], acc203 // copy acc to vreg[189]
v_accvgpr_read_b32 v[vgprValuC+24], acc95 // copy acc to vreg[190]
v_accvgpr_read_b32 v[vgprValuC+25], acc207 // copy acc to vreg[191]
s_nop 1                                            // 2 wait states required before reading vgpr

/* rC *= alpha batchElements=[(5, 0, 3, 0), (5, 0, 3, 1), (5, 1, 3, 0), (5, 1, 3, 1)] */
v_mov_b32 v26, v[vgprValuC+10]                     // store Cr
v_mul_f32 v[vgprValuC+10], s[sgprAlpha], v[vgprValuC+10] // *= alpha ( Cr = Ar * Cr)
_v_mac_f32 v[vgprValuC+10], -s[sgprAlpha+1], v[vgprValuC+11] // *= alpha ( Cr += -Ai * Ci )
v_mul_f32 v[vgprValuC+11], s[sgprAlpha], v[vgprValuC+11] // *= alpha ( Ci = Ar * Ci)
_v_mac_f32 v[vgprValuC+11], s[sgprAlpha+1], v26    // *= alpha ( Ci += Ai * Cr_backup )
v_mov_b32 v26, v[vgprValuC+14]                     // store Cr
v_mul_f32 v[vgprValuC+14], s[sgprAlpha], v[vgprValuC+14] // *= alpha ( Cr = Ar * Cr)
_v_mac_f32 v[vgprValuC+14], -s[sgprAlpha+1], v[vgprValuC+15] // *= alpha ( Cr += -Ai * Ci )
v_mul_f32 v[vgprValuC+15], s[sgprAlpha], v[vgprValuC+15] // *= alpha ( Ci = Ar * Ci)
_v_mac_f32 v[vgprValuC+15], s[sgprAlpha+1], v26    // *= alpha ( Ci += Ai * Cr_backup )
	;; [unrolled: 5-line block ×4, first 2 shown]
s_waitcnt vmcnt(0)                                 // wait C

/* apply mask, calc new C and issue writes */
_v_mac_f32 v[vgprValuC+10], v8, s[sgprBeta]        // finalSum Cr += old Cr * Br
_v_mac_f32 v[vgprValuC+10], v9, -s[sgprBeta+1]     // finalSum Cr += old Ci * -Bi
_v_mac_f32 v[vgprValuC+11], v9, s[sgprBeta]        // finalSum Ci += old Ci * Br
_v_mac_f32 v[vgprValuC+11], v8, s[sgprBeta+1]      // finalSum Ci += old Cr * Bi
_buffer_store_b64 v[10:11], v6, s[sgprSrdD:sgprSrdD+3], 0, offen, offset:0,  nt // store D
_v_mac_f32 v[vgprValuC+14], v12, s[sgprBeta]       // finalSum Cr += old Cr * Br
_v_mac_f32 v[vgprValuC+14], v13, -s[sgprBeta+1]    // finalSum Cr += old Ci * -Bi
_v_mac_f32 v[vgprValuC+15], v13, s[sgprBeta]       // finalSum Ci += old Ci * Br
_v_mac_f32 v[vgprValuC+15], v12, s[sgprBeta+1]     // finalSum Ci += old Cr * Bi
_buffer_store_b64 v[14:15], v7, s[sgprSrdD:sgprSrdD+3], 0, offen, offset:0,  nt // store D
_v_mac_f32 v[vgprValuC+20], v18, s[sgprBeta]       // finalSum Cr += old Cr * Br
_v_mac_f32 v[vgprValuC+20], v19, -s[sgprBeta+1]    // finalSum Cr += old Ci * -Bi
_v_mac_f32 v[vgprValuC+21], v19, s[sgprBeta]       // finalSum Ci += old Ci * Br
_v_mac_f32 v[vgprValuC+21], v18, s[sgprBeta+1]     // finalSum Ci += old Cr * Bi
	;; [unrolled: 5-line block ×3, first 2 shown]
_buffer_store_b64 v[24:25], v17, s[sgprSrdD:sgprSrdD+3], 0, offen, offset:0,  nt // store D
s_nop 0                                            // 1 wait state required when next inst writes vgprs held by previous dwordx4 store inst
/* optSingleColVgpr=0 optSharedColVgpr=0 optSGPRUsage=BufferLoad_Edge_Mask optSrdIncForRow=0 */
s_sleep 3 // optimization: sync and wait
s_barrier

/******************************************/
/* Global Write Alpha Beta Edge Batch #24 (d1,d0,vc1,vc0) = */
/*    (6,0,0,0:vw1); (6,0,0,1:vw1); (6,1,0,0:vw1); (6,1,0,1:vw1) */
/******************************************/

/* calc coords, apply mask, and issue loads (if necessary) */
/* (d1,vc1,d0,vc0)=(6,0,0,0) */
_v_add_co_u32 v1, vcc, v1, 13                      // coord1.1: coord1Vgpr += d1*sg1*VW + vc1

/* Fix for UseInitialStridesCD, emitAddressSetupCode */
s_mul_i32 s56, s[sgprStrideC1J], 13                // scale stride
_v_add_u32 v2, v2, s56                             // ROWINC- Move cinRowPtr to next row
s_mul_i32 s56, s[sgprStrideD1J], 13                // scale stride
_v_add_u32 v3, v3, s56                             // Move coutRowPtr to next row
v_cmp_lt_u32 s[56:57], v0, s[sgprSizeI]            // coord0 < size0
v_cmp_lt_u32 s[60:61], v1, s[sgprSizeJ]            // coord1 < size1
s_and_b64 s[60:61], s[56:57], s[60:61]             // in0 && in1
_v_add_lshl_u32 v6, v2, v0, 0x3                    // scaleToBpe: accumulate d0 lower and *= bpe into Cin addr
v_cndmask_b32 v6, -1, v6, s[60:61]                 // LDC clip if OOB. offset
_buffer_load_b64 v[8:9], v6, s[sgprSrdC:sgprSrdC+3], 0, offen offset:0,  nt // load C for beta calc
_v_add_lshl_u32 v6, v3, v0, 0x3                    // scaleToBpe: accumulate d0 lower and *= bpe into Cin addr
v_cndmask_b32 v6, -1, v6, s[60:61]                 // LDD clip if OOB. offset
/* (d1,vc1,d0,vc0)=(6,0,0,1) */
_v_add_co_u32 v4, vcc, v0, 1                       // coord0.1: coord0 += d0*sg0*VW + vc0
v_cmp_lt_u32 s[56:57], v4, s[sgprSizeI]            // coord0 < size0
v_cmp_lt_u32 s[60:61], v1, s[sgprSizeJ]            // coord1 < size1
s_and_b64 s[60:61], s[56:57], s[60:61]             // in0 && in1
_v_add_lshl_u32 v7, v2, v4, 0x3                    // scaleToBpe: accumulate d0 lower and *= bpe into Cin addr
v_cndmask_b32 v7, -1, v7, s[60:61]                 // LDC clip if OOB. offset
_buffer_load_b64 v[12:13], v7, s[sgprSrdC:sgprSrdC+3], 0, offen offset:0,  nt // load C for beta calc
_v_add_lshl_u32 v7, v3, v4, 0x3                    // scaleToBpe: accumulate d0 lower and *= bpe into Cin addr
v_cndmask_b32 v7, -1, v7, s[60:61]                 // LDD clip if OOB. offset
/* (d1,vc1,d0,vc0)=(6,0,1,0) */
s_mov_b32 s56, 128                                 // coordOffset0 d0=1 vc0=0
_v_add_co_u32 v4, vcc, v0, s56                     // coord0.2: coord0 += d0*sg0*VW + vc0
v_cmp_lt_u32 s[56:57], v4, s[sgprSizeI]            // coord0 < size0
v_cmp_lt_u32 s[60:61], v1, s[sgprSizeJ]            // coord1 < size1
s_and_b64 s[60:61], s[56:57], s[60:61]             // in0 && in1
_v_add_lshl_u32 v16, v2, v4, 0x3                   // scaleToBpe: accumulate d0 lower and *= bpe into Cin addr
v_cndmask_b32 v16, -1, v16, s[60:61]               // LDC clip if OOB. offset
_buffer_load_b64 v[18:19], v16, s[sgprSrdC:sgprSrdC+3], 0, offen offset:0,  nt // load C for beta calc
_v_add_lshl_u32 v16, v3, v4, 0x3                   // scaleToBpe: accumulate d0 lower and *= bpe into Cin addr
v_cndmask_b32 v16, -1, v16, s[60:61]               // LDD clip if OOB. offset
/* (d1,vc1,d0,vc0)=(6,0,1,1) */
s_mov_b32 s56, 129                                 // coordOffset0 d0=1 vc0=1
_v_add_co_u32 v4, vcc, v0, s56                     // coord0.2: coord0 += d0*sg0*VW + vc0
v_cmp_lt_u32 s[56:57], v4, s[sgprSizeI]            // coord0 < size0
v_cmp_lt_u32 s[60:61], v1, s[sgprSizeJ]            // coord1 < size1
s_and_b64 s[60:61], s[56:57], s[60:61]             // in0 && in1
_v_add_lshl_u32 v17, v2, v4, 0x3                   // scaleToBpe: accumulate d0 lower and *= bpe into Cin addr
v_cndmask_b32 v17, -1, v17, s[60:61]               // LDC clip if OOB. offset
_buffer_load_b64 v[22:23], v17, s[sgprSrdC:sgprSrdC+3], 0, offen offset:0,  nt // load C for beta calc
_v_add_lshl_u32 v17, v3, v4, 0x3                   // scaleToBpe: accumulate d0 lower and *= bpe into Cin addr
v_cndmask_b32 v17, -1, v17, s[60:61]               // LDD clip if OOB. offset
s_sleep 3 // optimization: sync and wait
s_barrier
v_accvgpr_read_b32 v[vgprValuC+10], acc96 // copy acc to vreg[192]
v_accvgpr_read_b32 v[vgprValuC+11], acc208 // copy acc to vreg[193]
v_accvgpr_read_b32 v[vgprValuC+14], acc100 // copy acc to vreg[194]
v_accvgpr_read_b32 v[vgprValuC+15], acc212 // copy acc to vreg[195]
v_accvgpr_read_b32 v[vgprValuC+20], acc104 // copy acc to vreg[196]
v_accvgpr_read_b32 v[vgprValuC+21], acc216 // copy acc to vreg[197]
v_accvgpr_read_b32 v[vgprValuC+24], acc108 // copy acc to vreg[198]
v_accvgpr_read_b32 v[vgprValuC+25], acc220 // copy acc to vreg[199]
s_nop 1                                            // 2 wait states required before reading vgpr

/* rC *= alpha batchElements=[(6, 0, 0, 0), (6, 0, 0, 1), (6, 1, 0, 0), (6, 1, 0, 1)] */
v_mov_b32 v26, v[vgprValuC+10]                     // store Cr
v_mul_f32 v[vgprValuC+10], s[sgprAlpha], v[vgprValuC+10] // *= alpha ( Cr = Ar * Cr)
_v_mac_f32 v[vgprValuC+10], -s[sgprAlpha+1], v[vgprValuC+11] // *= alpha ( Cr += -Ai * Ci )
v_mul_f32 v[vgprValuC+11], s[sgprAlpha], v[vgprValuC+11] // *= alpha ( Ci = Ar * Ci)
_v_mac_f32 v[vgprValuC+11], s[sgprAlpha+1], v26    // *= alpha ( Ci += Ai * Cr_backup )
v_mov_b32 v26, v[vgprValuC+14]                     // store Cr
v_mul_f32 v[vgprValuC+14], s[sgprAlpha], v[vgprValuC+14] // *= alpha ( Cr = Ar * Cr)
_v_mac_f32 v[vgprValuC+14], -s[sgprAlpha+1], v[vgprValuC+15] // *= alpha ( Cr += -Ai * Ci )
v_mul_f32 v[vgprValuC+15], s[sgprAlpha], v[vgprValuC+15] // *= alpha ( Ci = Ar * Ci)
_v_mac_f32 v[vgprValuC+15], s[sgprAlpha+1], v26    // *= alpha ( Ci += Ai * Cr_backup )
	;; [unrolled: 5-line block ×4, first 2 shown]
s_waitcnt vmcnt(0)                                 // wait C

/* apply mask, calc new C and issue writes */
_v_mac_f32 v[vgprValuC+10], v8, s[sgprBeta]        // finalSum Cr += old Cr * Br
_v_mac_f32 v[vgprValuC+10], v9, -s[sgprBeta+1]     // finalSum Cr += old Ci * -Bi
_v_mac_f32 v[vgprValuC+11], v9, s[sgprBeta]        // finalSum Ci += old Ci * Br
_v_mac_f32 v[vgprValuC+11], v8, s[sgprBeta+1]      // finalSum Ci += old Cr * Bi
_buffer_store_b64 v[10:11], v6, s[sgprSrdD:sgprSrdD+3], 0, offen, offset:0,  nt // store D
_v_mac_f32 v[vgprValuC+14], v12, s[sgprBeta]       // finalSum Cr += old Cr * Br
_v_mac_f32 v[vgprValuC+14], v13, -s[sgprBeta+1]    // finalSum Cr += old Ci * -Bi
_v_mac_f32 v[vgprValuC+15], v13, s[sgprBeta]       // finalSum Ci += old Ci * Br
_v_mac_f32 v[vgprValuC+15], v12, s[sgprBeta+1]     // finalSum Ci += old Cr * Bi
_buffer_store_b64 v[14:15], v7, s[sgprSrdD:sgprSrdD+3], 0, offen, offset:0,  nt // store D
_v_mac_f32 v[vgprValuC+20], v18, s[sgprBeta]       // finalSum Cr += old Cr * Br
_v_mac_f32 v[vgprValuC+20], v19, -s[sgprBeta+1]    // finalSum Cr += old Ci * -Bi
_v_mac_f32 v[vgprValuC+21], v19, s[sgprBeta]       // finalSum Ci += old Ci * Br
_v_mac_f32 v[vgprValuC+21], v18, s[sgprBeta+1]     // finalSum Ci += old Cr * Bi
	;; [unrolled: 5-line block ×3, first 2 shown]
_buffer_store_b64 v[24:25], v17, s[sgprSrdD:sgprSrdD+3], 0, offen, offset:0,  nt // store D
s_nop 0                                            // 1 wait state required when next inst writes vgprs held by previous dwordx4 store inst
/* optSingleColVgpr=0 optSharedColVgpr=0 optSGPRUsage=BufferLoad_Edge_Mask optSrdIncForRow=0 */
s_sleep 3 // optimization: sync and wait
s_barrier

/******************************************/
/* Global Write Alpha Beta Edge Batch #25 (d1,d0,vc1,vc0) = */
/*    (6,0,1,0:vw1); (6,0,1,1:vw1); (6,1,1,0:vw1); (6,1,1,1:vw1) */
/******************************************/

/* calc coords, apply mask, and issue loads (if necessary) */
/* (d1,vc1,d0,vc0)=(6,1,0,0) */
_v_add_co_u32 v1, vcc, v1, 1                       // coord1.1: coord1Vgpr += d1*sg1*VW + vc1

/* Fix for UseInitialStridesCD, emitAddressSetupCode */
_v_add_u32 v2, v2, s[sgprStrideC1J]                // ROWINC- Move cinRowPtr to next row
_v_add_u32 v3, v3, s[sgprStrideD1J]                // Move coutRowPtr to next row
v_cmp_lt_u32 s[56:57], v0, s[sgprSizeI]            // coord0 < size0
v_cmp_lt_u32 s[60:61], v1, s[sgprSizeJ]            // coord1 < size1
s_and_b64 s[60:61], s[56:57], s[60:61]             // in0 && in1
_v_add_lshl_u32 v6, v2, v0, 0x3                    // scaleToBpe: accumulate d0 lower and *= bpe into Cin addr
v_cndmask_b32 v6, -1, v6, s[60:61]                 // LDC clip if OOB. offset
_buffer_load_b64 v[8:9], v6, s[sgprSrdC:sgprSrdC+3], 0, offen offset:0,  nt // load C for beta calc
_v_add_lshl_u32 v6, v3, v0, 0x3                    // scaleToBpe: accumulate d0 lower and *= bpe into Cin addr
v_cndmask_b32 v6, -1, v6, s[60:61]                 // LDD clip if OOB. offset
/* (d1,vc1,d0,vc0)=(6,1,0,1) */
_v_add_co_u32 v4, vcc, v0, 1                       // coord0.1: coord0 += d0*sg0*VW + vc0
v_cmp_lt_u32 s[56:57], v4, s[sgprSizeI]            // coord0 < size0
v_cmp_lt_u32 s[60:61], v1, s[sgprSizeJ]            // coord1 < size1
s_and_b64 s[60:61], s[56:57], s[60:61]             // in0 && in1
_v_add_lshl_u32 v7, v2, v4, 0x3                    // scaleToBpe: accumulate d0 lower and *= bpe into Cin addr
v_cndmask_b32 v7, -1, v7, s[60:61]                 // LDC clip if OOB. offset
_buffer_load_b64 v[12:13], v7, s[sgprSrdC:sgprSrdC+3], 0, offen offset:0,  nt // load C for beta calc
_v_add_lshl_u32 v7, v3, v4, 0x3                    // scaleToBpe: accumulate d0 lower and *= bpe into Cin addr
v_cndmask_b32 v7, -1, v7, s[60:61]                 // LDD clip if OOB. offset
/* (d1,vc1,d0,vc0)=(6,1,1,0) */
s_mov_b32 s56, 128                                 // coordOffset0 d0=1 vc0=0
_v_add_co_u32 v4, vcc, v0, s56                     // coord0.2: coord0 += d0*sg0*VW + vc0
v_cmp_lt_u32 s[56:57], v4, s[sgprSizeI]            // coord0 < size0
v_cmp_lt_u32 s[60:61], v1, s[sgprSizeJ]            // coord1 < size1
s_and_b64 s[60:61], s[56:57], s[60:61]             // in0 && in1
_v_add_lshl_u32 v16, v2, v4, 0x3                   // scaleToBpe: accumulate d0 lower and *= bpe into Cin addr
v_cndmask_b32 v16, -1, v16, s[60:61]               // LDC clip if OOB. offset
_buffer_load_b64 v[18:19], v16, s[sgprSrdC:sgprSrdC+3], 0, offen offset:0,  nt // load C for beta calc
_v_add_lshl_u32 v16, v3, v4, 0x3                   // scaleToBpe: accumulate d0 lower and *= bpe into Cin addr
v_cndmask_b32 v16, -1, v16, s[60:61]               // LDD clip if OOB. offset
/* (d1,vc1,d0,vc0)=(6,1,1,1) */
s_mov_b32 s56, 129                                 // coordOffset0 d0=1 vc0=1
_v_add_co_u32 v4, vcc, v0, s56                     // coord0.2: coord0 += d0*sg0*VW + vc0
v_cmp_lt_u32 s[56:57], v4, s[sgprSizeI]            // coord0 < size0
v_cmp_lt_u32 s[60:61], v1, s[sgprSizeJ]            // coord1 < size1
s_and_b64 s[60:61], s[56:57], s[60:61]             // in0 && in1
_v_add_lshl_u32 v17, v2, v4, 0x3                   // scaleToBpe: accumulate d0 lower and *= bpe into Cin addr
v_cndmask_b32 v17, -1, v17, s[60:61]               // LDC clip if OOB. offset
_buffer_load_b64 v[22:23], v17, s[sgprSrdC:sgprSrdC+3], 0, offen offset:0,  nt // load C for beta calc
_v_add_lshl_u32 v17, v3, v4, 0x3                   // scaleToBpe: accumulate d0 lower and *= bpe into Cin addr
v_cndmask_b32 v17, -1, v17, s[60:61]               // LDD clip if OOB. offset
s_sleep 3 // optimization: sync and wait
s_barrier
v_accvgpr_read_b32 v[vgprValuC+10], acc97 // copy acc to vreg[200]
v_accvgpr_read_b32 v[vgprValuC+11], acc209 // copy acc to vreg[201]
v_accvgpr_read_b32 v[vgprValuC+14], acc101 // copy acc to vreg[202]
v_accvgpr_read_b32 v[vgprValuC+15], acc213 // copy acc to vreg[203]
v_accvgpr_read_b32 v[vgprValuC+20], acc105 // copy acc to vreg[204]
v_accvgpr_read_b32 v[vgprValuC+21], acc217 // copy acc to vreg[205]
v_accvgpr_read_b32 v[vgprValuC+24], acc109 // copy acc to vreg[206]
v_accvgpr_read_b32 v[vgprValuC+25], acc221 // copy acc to vreg[207]
s_nop 1                                            // 2 wait states required before reading vgpr

/* rC *= alpha batchElements=[(6, 0, 1, 0), (6, 0, 1, 1), (6, 1, 1, 0), (6, 1, 1, 1)] */
v_mov_b32 v26, v[vgprValuC+10]                     // store Cr
v_mul_f32 v[vgprValuC+10], s[sgprAlpha], v[vgprValuC+10] // *= alpha ( Cr = Ar * Cr)
_v_mac_f32 v[vgprValuC+10], -s[sgprAlpha+1], v[vgprValuC+11] // *= alpha ( Cr += -Ai * Ci )
v_mul_f32 v[vgprValuC+11], s[sgprAlpha], v[vgprValuC+11] // *= alpha ( Ci = Ar * Ci)
_v_mac_f32 v[vgprValuC+11], s[sgprAlpha+1], v26    // *= alpha ( Ci += Ai * Cr_backup )
v_mov_b32 v26, v[vgprValuC+14]                     // store Cr
v_mul_f32 v[vgprValuC+14], s[sgprAlpha], v[vgprValuC+14] // *= alpha ( Cr = Ar * Cr)
_v_mac_f32 v[vgprValuC+14], -s[sgprAlpha+1], v[vgprValuC+15] // *= alpha ( Cr += -Ai * Ci )
v_mul_f32 v[vgprValuC+15], s[sgprAlpha], v[vgprValuC+15] // *= alpha ( Ci = Ar * Ci)
_v_mac_f32 v[vgprValuC+15], s[sgprAlpha+1], v26    // *= alpha ( Ci += Ai * Cr_backup )
	;; [unrolled: 5-line block ×4, first 2 shown]
s_waitcnt vmcnt(0)                                 // wait C

/* apply mask, calc new C and issue writes */
_v_mac_f32 v[vgprValuC+10], v8, s[sgprBeta]        // finalSum Cr += old Cr * Br
_v_mac_f32 v[vgprValuC+10], v9, -s[sgprBeta+1]     // finalSum Cr += old Ci * -Bi
_v_mac_f32 v[vgprValuC+11], v9, s[sgprBeta]        // finalSum Ci += old Ci * Br
_v_mac_f32 v[vgprValuC+11], v8, s[sgprBeta+1]      // finalSum Ci += old Cr * Bi
_buffer_store_b64 v[10:11], v6, s[sgprSrdD:sgprSrdD+3], 0, offen, offset:0,  nt // store D
_v_mac_f32 v[vgprValuC+14], v12, s[sgprBeta]       // finalSum Cr += old Cr * Br
_v_mac_f32 v[vgprValuC+14], v13, -s[sgprBeta+1]    // finalSum Cr += old Ci * -Bi
_v_mac_f32 v[vgprValuC+15], v13, s[sgprBeta]       // finalSum Ci += old Ci * Br
_v_mac_f32 v[vgprValuC+15], v12, s[sgprBeta+1]     // finalSum Ci += old Cr * Bi
_buffer_store_b64 v[14:15], v7, s[sgprSrdD:sgprSrdD+3], 0, offen, offset:0,  nt // store D
_v_mac_f32 v[vgprValuC+20], v18, s[sgprBeta]       // finalSum Cr += old Cr * Br
_v_mac_f32 v[vgprValuC+20], v19, -s[sgprBeta+1]    // finalSum Cr += old Ci * -Bi
_v_mac_f32 v[vgprValuC+21], v19, s[sgprBeta]       // finalSum Ci += old Ci * Br
_v_mac_f32 v[vgprValuC+21], v18, s[sgprBeta+1]     // finalSum Ci += old Cr * Bi
	;; [unrolled: 5-line block ×3, first 2 shown]
_buffer_store_b64 v[24:25], v17, s[sgprSrdD:sgprSrdD+3], 0, offen, offset:0,  nt // store D
s_nop 0                                            // 1 wait state required when next inst writes vgprs held by previous dwordx4 store inst
/* optSingleColVgpr=0 optSharedColVgpr=0 optSGPRUsage=BufferLoad_Edge_Mask optSrdIncForRow=0 */
s_sleep 3 // optimization: sync and wait
s_barrier

/******************************************/
/* Global Write Alpha Beta Edge Batch #26 (d1,d0,vc1,vc0) = */
/*    (6,0,2,0:vw1); (6,0,2,1:vw1); (6,1,2,0:vw1); (6,1,2,1:vw1) */
/******************************************/

/* calc coords, apply mask, and issue loads (if necessary) */
/* (d1,vc1,d0,vc0)=(6,2,0,0) */
_v_add_co_u32 v1, vcc, v1, 1                       // coord1.1: coord1Vgpr += d1*sg1*VW + vc1

/* Fix for UseInitialStridesCD, emitAddressSetupCode */
_v_add_u32 v2, v2, s[sgprStrideC1J]                // ROWINC- Move cinRowPtr to next row
_v_add_u32 v3, v3, s[sgprStrideD1J]                // Move coutRowPtr to next row
v_cmp_lt_u32 s[56:57], v0, s[sgprSizeI]            // coord0 < size0
v_cmp_lt_u32 s[60:61], v1, s[sgprSizeJ]            // coord1 < size1
s_and_b64 s[60:61], s[56:57], s[60:61]             // in0 && in1
_v_add_lshl_u32 v6, v2, v0, 0x3                    // scaleToBpe: accumulate d0 lower and *= bpe into Cin addr
v_cndmask_b32 v6, -1, v6, s[60:61]                 // LDC clip if OOB. offset
_buffer_load_b64 v[8:9], v6, s[sgprSrdC:sgprSrdC+3], 0, offen offset:0,  nt // load C for beta calc
_v_add_lshl_u32 v6, v3, v0, 0x3                    // scaleToBpe: accumulate d0 lower and *= bpe into Cin addr
v_cndmask_b32 v6, -1, v6, s[60:61]                 // LDD clip if OOB. offset
/* (d1,vc1,d0,vc0)=(6,2,0,1) */
_v_add_co_u32 v4, vcc, v0, 1                       // coord0.1: coord0 += d0*sg0*VW + vc0
v_cmp_lt_u32 s[56:57], v4, s[sgprSizeI]            // coord0 < size0
v_cmp_lt_u32 s[60:61], v1, s[sgprSizeJ]            // coord1 < size1
s_and_b64 s[60:61], s[56:57], s[60:61]             // in0 && in1
_v_add_lshl_u32 v7, v2, v4, 0x3                    // scaleToBpe: accumulate d0 lower and *= bpe into Cin addr
v_cndmask_b32 v7, -1, v7, s[60:61]                 // LDC clip if OOB. offset
_buffer_load_b64 v[12:13], v7, s[sgprSrdC:sgprSrdC+3], 0, offen offset:0,  nt // load C for beta calc
_v_add_lshl_u32 v7, v3, v4, 0x3                    // scaleToBpe: accumulate d0 lower and *= bpe into Cin addr
v_cndmask_b32 v7, -1, v7, s[60:61]                 // LDD clip if OOB. offset
/* (d1,vc1,d0,vc0)=(6,2,1,0) */
s_mov_b32 s56, 128                                 // coordOffset0 d0=1 vc0=0
_v_add_co_u32 v4, vcc, v0, s56                     // coord0.2: coord0 += d0*sg0*VW + vc0
v_cmp_lt_u32 s[56:57], v4, s[sgprSizeI]            // coord0 < size0
v_cmp_lt_u32 s[60:61], v1, s[sgprSizeJ]            // coord1 < size1
s_and_b64 s[60:61], s[56:57], s[60:61]             // in0 && in1
_v_add_lshl_u32 v16, v2, v4, 0x3                   // scaleToBpe: accumulate d0 lower and *= bpe into Cin addr
v_cndmask_b32 v16, -1, v16, s[60:61]               // LDC clip if OOB. offset
_buffer_load_b64 v[18:19], v16, s[sgprSrdC:sgprSrdC+3], 0, offen offset:0,  nt // load C for beta calc
_v_add_lshl_u32 v16, v3, v4, 0x3                   // scaleToBpe: accumulate d0 lower and *= bpe into Cin addr
v_cndmask_b32 v16, -1, v16, s[60:61]               // LDD clip if OOB. offset
/* (d1,vc1,d0,vc0)=(6,2,1,1) */
s_mov_b32 s56, 129                                 // coordOffset0 d0=1 vc0=1
_v_add_co_u32 v4, vcc, v0, s56                     // coord0.2: coord0 += d0*sg0*VW + vc0
v_cmp_lt_u32 s[56:57], v4, s[sgprSizeI]            // coord0 < size0
v_cmp_lt_u32 s[60:61], v1, s[sgprSizeJ]            // coord1 < size1
s_and_b64 s[60:61], s[56:57], s[60:61]             // in0 && in1
_v_add_lshl_u32 v17, v2, v4, 0x3                   // scaleToBpe: accumulate d0 lower and *= bpe into Cin addr
v_cndmask_b32 v17, -1, v17, s[60:61]               // LDC clip if OOB. offset
_buffer_load_b64 v[22:23], v17, s[sgprSrdC:sgprSrdC+3], 0, offen offset:0,  nt // load C for beta calc
_v_add_lshl_u32 v17, v3, v4, 0x3                   // scaleToBpe: accumulate d0 lower and *= bpe into Cin addr
v_cndmask_b32 v17, -1, v17, s[60:61]               // LDD clip if OOB. offset
s_sleep 3 // optimization: sync and wait
s_barrier
v_accvgpr_read_b32 v[vgprValuC+10], acc98 // copy acc to vreg[208]
v_accvgpr_read_b32 v[vgprValuC+11], acc210 // copy acc to vreg[209]
v_accvgpr_read_b32 v[vgprValuC+14], acc102 // copy acc to vreg[210]
v_accvgpr_read_b32 v[vgprValuC+15], acc214 // copy acc to vreg[211]
v_accvgpr_read_b32 v[vgprValuC+20], acc106 // copy acc to vreg[212]
v_accvgpr_read_b32 v[vgprValuC+21], acc218 // copy acc to vreg[213]
v_accvgpr_read_b32 v[vgprValuC+24], acc110 // copy acc to vreg[214]
v_accvgpr_read_b32 v[vgprValuC+25], acc222 // copy acc to vreg[215]
s_nop 1                                            // 2 wait states required before reading vgpr

/* rC *= alpha batchElements=[(6, 0, 2, 0), (6, 0, 2, 1), (6, 1, 2, 0), (6, 1, 2, 1)] */
v_mov_b32 v26, v[vgprValuC+10]                     // store Cr
v_mul_f32 v[vgprValuC+10], s[sgprAlpha], v[vgprValuC+10] // *= alpha ( Cr = Ar * Cr)
_v_mac_f32 v[vgprValuC+10], -s[sgprAlpha+1], v[vgprValuC+11] // *= alpha ( Cr += -Ai * Ci )
v_mul_f32 v[vgprValuC+11], s[sgprAlpha], v[vgprValuC+11] // *= alpha ( Ci = Ar * Ci)
_v_mac_f32 v[vgprValuC+11], s[sgprAlpha+1], v26    // *= alpha ( Ci += Ai * Cr_backup )
v_mov_b32 v26, v[vgprValuC+14]                     // store Cr
v_mul_f32 v[vgprValuC+14], s[sgprAlpha], v[vgprValuC+14] // *= alpha ( Cr = Ar * Cr)
_v_mac_f32 v[vgprValuC+14], -s[sgprAlpha+1], v[vgprValuC+15] // *= alpha ( Cr += -Ai * Ci )
v_mul_f32 v[vgprValuC+15], s[sgprAlpha], v[vgprValuC+15] // *= alpha ( Ci = Ar * Ci)
_v_mac_f32 v[vgprValuC+15], s[sgprAlpha+1], v26    // *= alpha ( Ci += Ai * Cr_backup )
	;; [unrolled: 5-line block ×4, first 2 shown]
s_waitcnt vmcnt(0)                                 // wait C

/* apply mask, calc new C and issue writes */
_v_mac_f32 v[vgprValuC+10], v8, s[sgprBeta]        // finalSum Cr += old Cr * Br
_v_mac_f32 v[vgprValuC+10], v9, -s[sgprBeta+1]     // finalSum Cr += old Ci * -Bi
_v_mac_f32 v[vgprValuC+11], v9, s[sgprBeta]        // finalSum Ci += old Ci * Br
_v_mac_f32 v[vgprValuC+11], v8, s[sgprBeta+1]      // finalSum Ci += old Cr * Bi
_buffer_store_b64 v[10:11], v6, s[sgprSrdD:sgprSrdD+3], 0, offen, offset:0,  nt // store D
_v_mac_f32 v[vgprValuC+14], v12, s[sgprBeta]       // finalSum Cr += old Cr * Br
_v_mac_f32 v[vgprValuC+14], v13, -s[sgprBeta+1]    // finalSum Cr += old Ci * -Bi
_v_mac_f32 v[vgprValuC+15], v13, s[sgprBeta]       // finalSum Ci += old Ci * Br
_v_mac_f32 v[vgprValuC+15], v12, s[sgprBeta+1]     // finalSum Ci += old Cr * Bi
_buffer_store_b64 v[14:15], v7, s[sgprSrdD:sgprSrdD+3], 0, offen, offset:0,  nt // store D
_v_mac_f32 v[vgprValuC+20], v18, s[sgprBeta]       // finalSum Cr += old Cr * Br
_v_mac_f32 v[vgprValuC+20], v19, -s[sgprBeta+1]    // finalSum Cr += old Ci * -Bi
_v_mac_f32 v[vgprValuC+21], v19, s[sgprBeta]       // finalSum Ci += old Ci * Br
_v_mac_f32 v[vgprValuC+21], v18, s[sgprBeta+1]     // finalSum Ci += old Cr * Bi
	;; [unrolled: 5-line block ×3, first 2 shown]
_buffer_store_b64 v[24:25], v17, s[sgprSrdD:sgprSrdD+3], 0, offen, offset:0,  nt // store D
s_nop 0                                            // 1 wait state required when next inst writes vgprs held by previous dwordx4 store inst
/* optSingleColVgpr=0 optSharedColVgpr=0 optSGPRUsage=BufferLoad_Edge_Mask optSrdIncForRow=0 */
s_sleep 3 // optimization: sync and wait
s_barrier

/******************************************/
/* Global Write Alpha Beta Edge Batch #27 (d1,d0,vc1,vc0) = */
/*    (6,0,3,0:vw1); (6,0,3,1:vw1); (6,1,3,0:vw1); (6,1,3,1:vw1) */
/******************************************/

/* calc coords, apply mask, and issue loads (if necessary) */
/* (d1,vc1,d0,vc0)=(6,3,0,0) */
_v_add_co_u32 v1, vcc, v1, 1                       // coord1.1: coord1Vgpr += d1*sg1*VW + vc1

/* Fix for UseInitialStridesCD, emitAddressSetupCode */
_v_add_u32 v2, v2, s[sgprStrideC1J]                // ROWINC- Move cinRowPtr to next row
_v_add_u32 v3, v3, s[sgprStrideD1J]                // Move coutRowPtr to next row
v_cmp_lt_u32 s[56:57], v0, s[sgprSizeI]            // coord0 < size0
v_cmp_lt_u32 s[60:61], v1, s[sgprSizeJ]            // coord1 < size1
s_and_b64 s[60:61], s[56:57], s[60:61]             // in0 && in1
_v_add_lshl_u32 v6, v2, v0, 0x3                    // scaleToBpe: accumulate d0 lower and *= bpe into Cin addr
v_cndmask_b32 v6, -1, v6, s[60:61]                 // LDC clip if OOB. offset
_buffer_load_b64 v[8:9], v6, s[sgprSrdC:sgprSrdC+3], 0, offen offset:0,  nt // load C for beta calc
_v_add_lshl_u32 v6, v3, v0, 0x3                    // scaleToBpe: accumulate d0 lower and *= bpe into Cin addr
v_cndmask_b32 v6, -1, v6, s[60:61]                 // LDD clip if OOB. offset
/* (d1,vc1,d0,vc0)=(6,3,0,1) */
_v_add_co_u32 v4, vcc, v0, 1                       // coord0.1: coord0 += d0*sg0*VW + vc0
v_cmp_lt_u32 s[56:57], v4, s[sgprSizeI]            // coord0 < size0
v_cmp_lt_u32 s[60:61], v1, s[sgprSizeJ]            // coord1 < size1
s_and_b64 s[60:61], s[56:57], s[60:61]             // in0 && in1
_v_add_lshl_u32 v7, v2, v4, 0x3                    // scaleToBpe: accumulate d0 lower and *= bpe into Cin addr
v_cndmask_b32 v7, -1, v7, s[60:61]                 // LDC clip if OOB. offset
_buffer_load_b64 v[12:13], v7, s[sgprSrdC:sgprSrdC+3], 0, offen offset:0,  nt // load C for beta calc
_v_add_lshl_u32 v7, v3, v4, 0x3                    // scaleToBpe: accumulate d0 lower and *= bpe into Cin addr
v_cndmask_b32 v7, -1, v7, s[60:61]                 // LDD clip if OOB. offset
/* (d1,vc1,d0,vc0)=(6,3,1,0) */
s_mov_b32 s56, 128                                 // coordOffset0 d0=1 vc0=0
_v_add_co_u32 v4, vcc, v0, s56                     // coord0.2: coord0 += d0*sg0*VW + vc0
v_cmp_lt_u32 s[56:57], v4, s[sgprSizeI]            // coord0 < size0
v_cmp_lt_u32 s[60:61], v1, s[sgprSizeJ]            // coord1 < size1
s_and_b64 s[60:61], s[56:57], s[60:61]             // in0 && in1
_v_add_lshl_u32 v16, v2, v4, 0x3                   // scaleToBpe: accumulate d0 lower and *= bpe into Cin addr
v_cndmask_b32 v16, -1, v16, s[60:61]               // LDC clip if OOB. offset
_buffer_load_b64 v[18:19], v16, s[sgprSrdC:sgprSrdC+3], 0, offen offset:0,  nt // load C for beta calc
_v_add_lshl_u32 v16, v3, v4, 0x3                   // scaleToBpe: accumulate d0 lower and *= bpe into Cin addr
v_cndmask_b32 v16, -1, v16, s[60:61]               // LDD clip if OOB. offset
/* (d1,vc1,d0,vc0)=(6,3,1,1) */
s_mov_b32 s56, 129                                 // coordOffset0 d0=1 vc0=1
_v_add_co_u32 v4, vcc, v0, s56                     // coord0.2: coord0 += d0*sg0*VW + vc0
v_cmp_lt_u32 s[56:57], v4, s[sgprSizeI]            // coord0 < size0
v_cmp_lt_u32 s[60:61], v1, s[sgprSizeJ]            // coord1 < size1
s_and_b64 s[60:61], s[56:57], s[60:61]             // in0 && in1
_v_add_lshl_u32 v17, v2, v4, 0x3                   // scaleToBpe: accumulate d0 lower and *= bpe into Cin addr
v_cndmask_b32 v17, -1, v17, s[60:61]               // LDC clip if OOB. offset
_buffer_load_b64 v[22:23], v17, s[sgprSrdC:sgprSrdC+3], 0, offen offset:0,  nt // load C for beta calc
_v_add_lshl_u32 v17, v3, v4, 0x3                   // scaleToBpe: accumulate d0 lower and *= bpe into Cin addr
v_cndmask_b32 v17, -1, v17, s[60:61]               // LDD clip if OOB. offset
s_sleep 3 // optimization: sync and wait
s_barrier
v_accvgpr_read_b32 v[vgprValuC+10], acc99 // copy acc to vreg[216]
v_accvgpr_read_b32 v[vgprValuC+11], acc211 // copy acc to vreg[217]
v_accvgpr_read_b32 v[vgprValuC+14], acc103 // copy acc to vreg[218]
v_accvgpr_read_b32 v[vgprValuC+15], acc215 // copy acc to vreg[219]
v_accvgpr_read_b32 v[vgprValuC+20], acc107 // copy acc to vreg[220]
v_accvgpr_read_b32 v[vgprValuC+21], acc219 // copy acc to vreg[221]
v_accvgpr_read_b32 v[vgprValuC+24], acc111 // copy acc to vreg[222]
v_accvgpr_read_b32 v[vgprValuC+25], acc223 // copy acc to vreg[223]
s_nop 1                                            // 2 wait states required before reading vgpr

/* rC *= alpha batchElements=[(6, 0, 3, 0), (6, 0, 3, 1), (6, 1, 3, 0), (6, 1, 3, 1)] */
v_mov_b32 v26, v[vgprValuC+10]                     // store Cr
v_mul_f32 v[vgprValuC+10], s[sgprAlpha], v[vgprValuC+10] // *= alpha ( Cr = Ar * Cr)
_v_mac_f32 v[vgprValuC+10], -s[sgprAlpha+1], v[vgprValuC+11] // *= alpha ( Cr += -Ai * Ci )
v_mul_f32 v[vgprValuC+11], s[sgprAlpha], v[vgprValuC+11] // *= alpha ( Ci = Ar * Ci)
_v_mac_f32 v[vgprValuC+11], s[sgprAlpha+1], v26    // *= alpha ( Ci += Ai * Cr_backup )
v_mov_b32 v26, v[vgprValuC+14]                     // store Cr
v_mul_f32 v[vgprValuC+14], s[sgprAlpha], v[vgprValuC+14] // *= alpha ( Cr = Ar * Cr)
_v_mac_f32 v[vgprValuC+14], -s[sgprAlpha+1], v[vgprValuC+15] // *= alpha ( Cr += -Ai * Ci )
v_mul_f32 v[vgprValuC+15], s[sgprAlpha], v[vgprValuC+15] // *= alpha ( Ci = Ar * Ci)
_v_mac_f32 v[vgprValuC+15], s[sgprAlpha+1], v26    // *= alpha ( Ci += Ai * Cr_backup )
	;; [unrolled: 5-line block ×4, first 2 shown]
s_waitcnt vmcnt(0)                                 // wait C

/* apply mask, calc new C and issue writes */
_v_mac_f32 v[vgprValuC+10], v8, s[sgprBeta]        // finalSum Cr += old Cr * Br
_v_mac_f32 v[vgprValuC+10], v9, -s[sgprBeta+1]     // finalSum Cr += old Ci * -Bi
_v_mac_f32 v[vgprValuC+11], v9, s[sgprBeta]        // finalSum Ci += old Ci * Br
_v_mac_f32 v[vgprValuC+11], v8, s[sgprBeta+1]      // finalSum Ci += old Cr * Bi
_buffer_store_b64 v[10:11], v6, s[sgprSrdD:sgprSrdD+3], 0, offen, offset:0,  nt // store D
_v_mac_f32 v[vgprValuC+14], v12, s[sgprBeta]       // finalSum Cr += old Cr * Br
_v_mac_f32 v[vgprValuC+14], v13, -s[sgprBeta+1]    // finalSum Cr += old Ci * -Bi
_v_mac_f32 v[vgprValuC+15], v13, s[sgprBeta]       // finalSum Ci += old Ci * Br
_v_mac_f32 v[vgprValuC+15], v12, s[sgprBeta+1]     // finalSum Ci += old Cr * Bi
_buffer_store_b64 v[14:15], v7, s[sgprSrdD:sgprSrdD+3], 0, offen, offset:0,  nt // store D
_v_mac_f32 v[vgprValuC+20], v18, s[sgprBeta]       // finalSum Cr += old Cr * Br
_v_mac_f32 v[vgprValuC+20], v19, -s[sgprBeta+1]    // finalSum Cr += old Ci * -Bi
_v_mac_f32 v[vgprValuC+21], v19, s[sgprBeta]       // finalSum Ci += old Ci * Br
_v_mac_f32 v[vgprValuC+21], v18, s[sgprBeta+1]     // finalSum Ci += old Cr * Bi
	;; [unrolled: 5-line block ×3, first 2 shown]
_buffer_store_b64 v[24:25], v17, s[sgprSrdD:sgprSrdD+3], 0, offen, offset:0,  nt // store D
s_nop 0                                            // 1 wait state required when next inst writes vgprs held by previous dwordx4 store inst
s_branch label_GW_End_44                           // jump to end
label_GW_End_44:

label_0049:  /// KernelEnd
s_endpgm                                           // Kernel End

